;; amdgpu-corpus repo=ROCm/rocFFT kind=compiled arch=gfx950 opt=O3
	.text
	.amdgcn_target "amdgcn-amd-amdhsa--gfx950"
	.amdhsa_code_object_version 6
	.protected	fft_rtc_fwd_len945_factors_3_3_3_5_7_wgs_63_tpt_63_halfLds_sp_ip_CI_sbrr_dirReg ; -- Begin function fft_rtc_fwd_len945_factors_3_3_3_5_7_wgs_63_tpt_63_halfLds_sp_ip_CI_sbrr_dirReg
	.globl	fft_rtc_fwd_len945_factors_3_3_3_5_7_wgs_63_tpt_63_halfLds_sp_ip_CI_sbrr_dirReg
	.p2align	8
	.type	fft_rtc_fwd_len945_factors_3_3_3_5_7_wgs_63_tpt_63_halfLds_sp_ip_CI_sbrr_dirReg,@function
fft_rtc_fwd_len945_factors_3_3_3_5_7_wgs_63_tpt_63_halfLds_sp_ip_CI_sbrr_dirReg: ; @fft_rtc_fwd_len945_factors_3_3_3_5_7_wgs_63_tpt_63_halfLds_sp_ip_CI_sbrr_dirReg
; %bb.0:
	s_load_dwordx2 s[12:13], s[0:1], 0x18
	s_load_dwordx4 s[4:7], s[0:1], 0x0
	s_load_dwordx2 s[10:11], s[0:1], 0x50
	v_mul_u32_u24_e32 v1, 0x411, v0
	v_add_u32_sdwa v6, s2, v1 dst_sel:DWORD dst_unused:UNUSED_PAD src0_sel:DWORD src1_sel:WORD_1
	s_waitcnt lgkmcnt(0)
	s_load_dwordx2 s[8:9], s[12:13], 0x0
	v_mov_b32_e32 v4, 0
	v_cmp_lt_u64_e64 s[2:3], s[6:7], 2
	v_mov_b32_e32 v7, v4
	s_and_b64 vcc, exec, s[2:3]
	v_mov_b64_e32 v[2:3], 0
	s_cbranch_vccnz .LBB0_8
; %bb.1:
	s_load_dwordx2 s[2:3], s[0:1], 0x10
	s_add_u32 s14, s12, 8
	s_addc_u32 s15, s13, 0
	s_mov_b64 s[16:17], 1
	v_mov_b64_e32 v[2:3], 0
	s_waitcnt lgkmcnt(0)
	s_add_u32 s18, s2, 8
	s_addc_u32 s19, s3, 0
.LBB0_2:                                ; =>This Inner Loop Header: Depth=1
	s_load_dwordx2 s[20:21], s[18:19], 0x0
                                        ; implicit-def: $vgpr8_vgpr9
	s_waitcnt lgkmcnt(0)
	v_or_b32_e32 v5, s21, v7
	v_cmp_ne_u64_e32 vcc, 0, v[4:5]
	s_and_saveexec_b64 s[2:3], vcc
	s_xor_b64 s[22:23], exec, s[2:3]
	s_cbranch_execz .LBB0_4
; %bb.3:                                ;   in Loop: Header=BB0_2 Depth=1
	v_cvt_f32_u32_e32 v1, s20
	v_cvt_f32_u32_e32 v5, s21
	s_sub_u32 s2, 0, s20
	s_subb_u32 s3, 0, s21
	v_fmac_f32_e32 v1, 0x4f800000, v5
	v_rcp_f32_e32 v1, v1
	s_nop 0
	v_mul_f32_e32 v1, 0x5f7ffffc, v1
	v_mul_f32_e32 v5, 0x2f800000, v1
	v_trunc_f32_e32 v5, v5
	v_fmac_f32_e32 v1, 0xcf800000, v5
	v_cvt_u32_f32_e32 v5, v5
	v_cvt_u32_f32_e32 v1, v1
	v_mul_lo_u32 v8, s2, v5
	v_mul_hi_u32 v10, s2, v1
	v_mul_lo_u32 v9, s3, v1
	v_add_u32_e32 v10, v10, v8
	v_mul_lo_u32 v12, s2, v1
	v_add_u32_e32 v13, v10, v9
	v_mul_hi_u32 v8, v1, v12
	v_mul_hi_u32 v11, v1, v13
	v_mul_lo_u32 v10, v1, v13
	v_mov_b32_e32 v9, v4
	v_lshl_add_u64 v[8:9], v[8:9], 0, v[10:11]
	v_mul_hi_u32 v11, v5, v12
	v_mul_lo_u32 v12, v5, v12
	v_add_co_u32_e32 v8, vcc, v8, v12
	v_mul_hi_u32 v10, v5, v13
	s_nop 0
	v_addc_co_u32_e32 v8, vcc, v9, v11, vcc
	v_mov_b32_e32 v9, v4
	s_nop 0
	v_addc_co_u32_e32 v11, vcc, 0, v10, vcc
	v_mul_lo_u32 v10, v5, v13
	v_lshl_add_u64 v[8:9], v[8:9], 0, v[10:11]
	v_add_co_u32_e32 v1, vcc, v1, v8
	v_mul_lo_u32 v10, s2, v1
	s_nop 0
	v_addc_co_u32_e32 v5, vcc, v5, v9, vcc
	v_mul_lo_u32 v8, s2, v5
	v_mul_hi_u32 v9, s2, v1
	v_add_u32_e32 v8, v9, v8
	v_mul_lo_u32 v9, s3, v1
	v_add_u32_e32 v12, v8, v9
	v_mul_hi_u32 v14, v5, v10
	v_mul_lo_u32 v15, v5, v10
	v_mul_hi_u32 v9, v1, v12
	v_mul_lo_u32 v8, v1, v12
	v_mul_hi_u32 v10, v1, v10
	v_mov_b32_e32 v11, v4
	v_lshl_add_u64 v[8:9], v[10:11], 0, v[8:9]
	v_add_co_u32_e32 v8, vcc, v8, v15
	v_mul_hi_u32 v13, v5, v12
	s_nop 0
	v_addc_co_u32_e32 v8, vcc, v9, v14, vcc
	v_mul_lo_u32 v10, v5, v12
	s_nop 0
	v_addc_co_u32_e32 v11, vcc, 0, v13, vcc
	v_mov_b32_e32 v9, v4
	v_lshl_add_u64 v[8:9], v[8:9], 0, v[10:11]
	v_add_co_u32_e32 v1, vcc, v1, v8
	v_mul_hi_u32 v10, v6, v1
	s_nop 0
	v_addc_co_u32_e32 v5, vcc, v5, v9, vcc
	v_mad_u64_u32 v[8:9], s[2:3], v6, v5, 0
	v_mov_b32_e32 v11, v4
	v_lshl_add_u64 v[8:9], v[10:11], 0, v[8:9]
	v_mad_u64_u32 v[12:13], s[2:3], v7, v1, 0
	v_add_co_u32_e32 v1, vcc, v8, v12
	v_mad_u64_u32 v[10:11], s[2:3], v7, v5, 0
	s_nop 0
	v_addc_co_u32_e32 v8, vcc, v9, v13, vcc
	v_mov_b32_e32 v9, v4
	s_nop 0
	v_addc_co_u32_e32 v11, vcc, 0, v11, vcc
	v_lshl_add_u64 v[8:9], v[8:9], 0, v[10:11]
	v_mul_lo_u32 v1, s21, v8
	v_mul_lo_u32 v5, s20, v9
	v_mad_u64_u32 v[10:11], s[2:3], s20, v8, 0
	v_add3_u32 v1, v11, v5, v1
	v_sub_u32_e32 v5, v7, v1
	v_mov_b32_e32 v11, s21
	v_sub_co_u32_e32 v14, vcc, v6, v10
	v_lshl_add_u64 v[12:13], v[8:9], 0, 1
	s_nop 0
	v_subb_co_u32_e64 v5, s[2:3], v5, v11, vcc
	v_subrev_co_u32_e64 v10, s[2:3], s20, v14
	v_subb_co_u32_e32 v1, vcc, v7, v1, vcc
	s_nop 0
	v_subbrev_co_u32_e64 v5, s[2:3], 0, v5, s[2:3]
	v_cmp_le_u32_e64 s[2:3], s21, v5
	v_cmp_le_u32_e32 vcc, s21, v1
	s_nop 0
	v_cndmask_b32_e64 v11, 0, -1, s[2:3]
	v_cmp_le_u32_e64 s[2:3], s20, v10
	s_nop 1
	v_cndmask_b32_e64 v10, 0, -1, s[2:3]
	v_cmp_eq_u32_e64 s[2:3], s21, v5
	s_nop 1
	v_cndmask_b32_e64 v5, v11, v10, s[2:3]
	v_lshl_add_u64 v[10:11], v[8:9], 0, 2
	v_cmp_ne_u32_e64 s[2:3], 0, v5
	s_nop 1
	v_cndmask_b32_e64 v5, v13, v11, s[2:3]
	v_cndmask_b32_e64 v11, 0, -1, vcc
	v_cmp_le_u32_e32 vcc, s20, v14
	s_nop 1
	v_cndmask_b32_e64 v13, 0, -1, vcc
	v_cmp_eq_u32_e32 vcc, s21, v1
	s_nop 1
	v_cndmask_b32_e32 v1, v11, v13, vcc
	v_cmp_ne_u32_e32 vcc, 0, v1
	v_cndmask_b32_e64 v1, v12, v10, s[2:3]
	s_nop 0
	v_cndmask_b32_e32 v9, v9, v5, vcc
	v_cndmask_b32_e32 v8, v8, v1, vcc
.LBB0_4:                                ;   in Loop: Header=BB0_2 Depth=1
	s_andn2_saveexec_b64 s[2:3], s[22:23]
	s_cbranch_execz .LBB0_6
; %bb.5:                                ;   in Loop: Header=BB0_2 Depth=1
	v_cvt_f32_u32_e32 v1, s20
	s_sub_i32 s22, 0, s20
	v_rcp_iflag_f32_e32 v1, v1
	s_nop 0
	v_mul_f32_e32 v1, 0x4f7ffffe, v1
	v_cvt_u32_f32_e32 v1, v1
	v_mul_lo_u32 v5, s22, v1
	v_mul_hi_u32 v5, v1, v5
	v_add_u32_e32 v1, v1, v5
	v_mul_hi_u32 v1, v6, v1
	v_mul_lo_u32 v5, v1, s20
	v_sub_u32_e32 v5, v6, v5
	v_add_u32_e32 v8, 1, v1
	v_subrev_u32_e32 v9, s20, v5
	v_cmp_le_u32_e32 vcc, s20, v5
	s_nop 1
	v_cndmask_b32_e32 v5, v5, v9, vcc
	v_cndmask_b32_e32 v1, v1, v8, vcc
	v_add_u32_e32 v8, 1, v1
	v_cmp_le_u32_e32 vcc, s20, v5
	v_mov_b32_e32 v9, v4
	s_nop 0
	v_cndmask_b32_e32 v8, v1, v8, vcc
.LBB0_6:                                ;   in Loop: Header=BB0_2 Depth=1
	s_or_b64 exec, exec, s[2:3]
	v_mad_u64_u32 v[10:11], s[2:3], v8, s20, 0
	s_load_dwordx2 s[2:3], s[14:15], 0x0
	v_mul_lo_u32 v1, v9, s20
	v_mul_lo_u32 v5, v8, s21
	v_add3_u32 v1, v11, v5, v1
	v_sub_co_u32_e32 v5, vcc, v6, v10
	s_add_u32 s16, s16, 1
	s_nop 0
	v_subb_co_u32_e32 v1, vcc, v7, v1, vcc
	s_addc_u32 s17, s17, 0
	s_waitcnt lgkmcnt(0)
	v_mul_lo_u32 v1, s2, v1
	v_mul_lo_u32 v6, s3, v5
	v_mad_u64_u32 v[2:3], s[2:3], s2, v5, v[2:3]
	s_add_u32 s14, s14, 8
	v_add3_u32 v3, v6, v3, v1
	s_addc_u32 s15, s15, 0
	v_mov_b64_e32 v[6:7], s[6:7]
	s_add_u32 s18, s18, 8
	v_cmp_ge_u64_e32 vcc, s[16:17], v[6:7]
	s_addc_u32 s19, s19, 0
	s_cbranch_vccnz .LBB0_9
; %bb.7:                                ;   in Loop: Header=BB0_2 Depth=1
	v_mov_b64_e32 v[6:7], v[8:9]
	s_branch .LBB0_2
.LBB0_8:
	v_mov_b64_e32 v[8:9], v[6:7]
.LBB0_9:
	s_lshl_b64 s[2:3], s[6:7], 3
	s_add_u32 s2, s12, s2
	s_addc_u32 s3, s13, s3
	s_load_dwordx2 s[6:7], s[2:3], 0x0
	s_load_dwordx2 s[12:13], s[0:1], 0x20
	s_mov_b32 s2, 0x4104105
                                        ; implicit-def: $vgpr58
                                        ; implicit-def: $vgpr73
                                        ; implicit-def: $vgpr33
                                        ; implicit-def: $vgpr37
	s_waitcnt lgkmcnt(0)
	v_mul_lo_u32 v1, s6, v9
	v_mul_lo_u32 v4, s7, v8
	v_mad_u64_u32 v[2:3], s[0:1], s6, v8, v[2:3]
	v_add3_u32 v3, v4, v3, v1
	v_mul_hi_u32 v1, v0, s2
	v_mul_u32_u24_e32 v1, 63, v1
	v_sub_u32_e32 v63, v0, v1
	v_cmp_gt_u64_e32 vcc, s[12:13], v[8:9]
	v_cmp_le_u64_e64 s[0:1], s[12:13], v[8:9]
	v_add_u32_e32 v76, 63, v63
	s_and_saveexec_b64 s[2:3], s[0:1]
	s_xor_b64 s[0:1], exec, s[2:3]
; %bb.10:
	v_add_u32_e32 v58, 63, v63
	v_add_u32_e32 v73, 0x7e, v63
	;; [unrolled: 1-line block ×4, first 2 shown]
; %bb.11:
	s_or_saveexec_b64 s[0:1], s[0:1]
	v_lshl_add_u64 v[16:17], v[2:3], 3, s[10:11]
                                        ; implicit-def: $vgpr28
                                        ; implicit-def: $vgpr36
                                        ; implicit-def: $vgpr14
                                        ; implicit-def: $vgpr6
                                        ; implicit-def: $vgpr4
                                        ; implicit-def: $vgpr0
                                        ; implicit-def: $vgpr18
                                        ; implicit-def: $vgpr38
                                        ; implicit-def: $vgpr24
                                        ; implicit-def: $vgpr2
                                        ; implicit-def: $vgpr12
                                        ; implicit-def: $vgpr20
                                        ; implicit-def: $vgpr40
                                        ; implicit-def: $vgpr22
                                        ; implicit-def: $vgpr8
                                        ; implicit-def: $vgpr34
                                        ; implicit-def: $vgpr26
                                        ; implicit-def: $vgpr10
                                        ; implicit-def: $vgpr30
                                        ; implicit-def: $vgpr32
	s_xor_b64 exec, exec, s[0:1]
	s_cbranch_execz .LBB0_13
; %bb.12:
	v_mad_u64_u32 v[0:1], s[2:3], s8, v63, 0
	v_mov_b32_e32 v2, v1
	v_mad_u64_u32 v[2:3], s[2:3], s9, v63, v[2:3]
	v_add_u32_e32 v5, 0x13b, v63
	v_mov_b32_e32 v1, v2
	v_mad_u64_u32 v[2:3], s[2:3], s8, v5, 0
	v_mov_b32_e32 v4, v3
	v_mad_u64_u32 v[4:5], s[2:3], s9, v5, v[4:5]
	v_add_u32_e32 v7, 0x276, v63
	v_mov_b32_e32 v3, v4
	v_mad_u64_u32 v[4:5], s[2:3], s8, v7, 0
	v_mov_b32_e32 v6, v5
	v_mad_u64_u32 v[6:7], s[2:3], s9, v7, v[6:7]
	;; [unrolled: 2-line block ×4, first 2 shown]
	v_lshl_add_u64 v[0:1], v[0:1], 3, v[16:17]
	v_lshl_add_u64 v[2:3], v[2:3], 3, v[16:17]
	v_mov_b32_e32 v7, v8
	v_lshl_add_u64 v[4:5], v[4:5], 3, v[16:17]
	v_lshl_add_u64 v[8:9], v[6:7], 3, v[16:17]
	global_load_dwordx2 v[28:29], v[0:1], off
	global_load_dwordx2 v[14:15], v[2:3], off
	;; [unrolled: 1-line block ×4, first 2 shown]
	v_add_u32_e32 v3, 0x17a, v63
	v_mad_u64_u32 v[0:1], s[2:3], s8, v3, 0
	v_mov_b32_e32 v2, v1
	v_mad_u64_u32 v[2:3], s[2:3], s9, v3, v[2:3]
	v_mov_b32_e32 v1, v2
	v_add_u32_e32 v5, 0x2b5, v63
	v_lshl_add_u64 v[2:3], v[0:1], 3, v[16:17]
	v_mad_u64_u32 v[0:1], s[2:3], s8, v5, 0
	v_mov_b32_e32 v4, v1
	v_mad_u64_u32 v[4:5], s[2:3], s9, v5, v[4:5]
	v_mov_b32_e32 v1, v4
	v_add_u32_e32 v73, 0x7e, v63
	v_lshl_add_u64 v[8:9], v[0:1], 3, v[16:17]
	v_mad_u64_u32 v[0:1], s[2:3], s8, v73, 0
	v_mov_b32_e32 v4, v1
	v_mad_u64_u32 v[4:5], s[2:3], s9, v73, v[4:5]
	v_mov_b32_e32 v1, v4
	v_add_u32_e32 v5, 0x1b9, v63
	v_lshl_add_u64 v[12:13], v[0:1], 3, v[16:17]
	v_mad_u64_u32 v[0:1], s[2:3], s8, v5, 0
	v_mov_b32_e32 v4, v1
	v_mad_u64_u32 v[4:5], s[2:3], s9, v5, v[4:5]
	v_mov_b32_e32 v1, v4
	v_lshl_add_u64 v[18:19], v[0:1], 3, v[16:17]
	global_load_dwordx2 v[4:5], v[2:3], off
	global_load_dwordx2 v[10:11], v[8:9], off
	;; [unrolled: 1-line block ×4, first 2 shown]
	v_add_u32_e32 v9, 0x2f4, v63
	v_mad_u64_u32 v[2:3], s[2:3], s8, v9, 0
	v_mov_b32_e32 v8, v3
	v_mad_u64_u32 v[8:9], s[2:3], s9, v9, v[8:9]
	v_mov_b32_e32 v3, v8
	v_add_u32_e32 v33, 0xbd, v63
	v_lshl_add_u64 v[12:13], v[2:3], 3, v[16:17]
	v_mad_u64_u32 v[2:3], s[2:3], s8, v33, 0
	v_mov_b32_e32 v8, v3
	v_mad_u64_u32 v[8:9], s[2:3], s9, v33, v[8:9]
	v_mov_b32_e32 v3, v8
	v_add_u32_e32 v9, 0x1f8, v63
	v_lshl_add_u64 v[20:21], v[2:3], 3, v[16:17]
	;; [unrolled: 6-line block ×4, first 2 shown]
	global_load_dwordx2 v[18:19], v[12:13], off
	global_load_dwordx2 v[38:39], v[20:21], off
	;; [unrolled: 1-line block ×4, first 2 shown]
	v_mad_u64_u32 v[12:13], s[2:3], s8, v37, 0
	v_mov_b32_e32 v20, v13
	v_mad_u64_u32 v[20:21], s[2:3], s9, v37, v[20:21]
	v_add_u32_e32 v23, 0x237, v63
	v_mov_b32_e32 v13, v20
	v_mad_u64_u32 v[20:21], s[2:3], s8, v23, 0
	v_mov_b32_e32 v22, v21
	v_mad_u64_u32 v[22:23], s[2:3], s9, v23, v[22:23]
	v_mov_b32_e32 v21, v22
	v_add_u32_e32 v25, 0x372, v63
	v_lshl_add_u64 v[22:23], v[20:21], 3, v[16:17]
	v_mad_u64_u32 v[20:21], s[2:3], s8, v25, 0
	v_mov_b32_e32 v24, v21
	v_lshl_add_u64 v[12:13], v[12:13], 3, v[16:17]
	v_mad_u64_u32 v[24:25], s[2:3], s9, v25, v[24:25]
	v_mov_b32_e32 v21, v24
	global_load_dwordx2 v[40:41], v[12:13], off
	v_lshl_add_u64 v[24:25], v[20:21], 3, v[16:17]
	global_load_dwordx2 v[20:21], v[22:23], off
	global_load_dwordx2 v[12:13], v[24:25], off
	v_mov_b32_e32 v58, v76
	s_waitcnt vmcnt(14)
	v_mov_b32_e32 v36, v29
	s_waitcnt vmcnt(11)
	;; [unrolled: 2-line block ×5, first 2 shown]
	v_mov_b32_e32 v22, v41
.LBB0_13:
	s_or_b64 exec, exec, s[0:1]
	v_pk_add_f32 v[42:43], v[14:15], v[6:7]
	v_mov_b32_e32 v44, v14
	v_mul_f32_e32 v45, 0.5, v42
	v_pk_add_f32 v[46:47], v[14:15], v[6:7] neg_lo:[0,1] neg_hi:[0,1]
	v_pk_add_f32 v[50:51], v[4:5], v[10:11]
	v_pk_add_f32 v[44:45], v[28:29], v[44:45] op_sel_hi:[0,1] neg_lo:[0,1] neg_hi:[0,1]
	v_pk_add_f32 v[28:29], v[28:29], v[14:15]
	v_mul_f32_e32 v49, 0x3f5db3d7, v47
	v_mul_f32_e32 v53, 0.5, v50
	v_mov_b32_e32 v29, v45
	v_mov_b32_e32 v48, v6
	;; [unrolled: 1-line block ×3, first 2 shown]
	v_pk_add_f32 v[54:55], v[4:5], v[10:11] neg_lo:[0,1] neg_hi:[0,1]
	v_pk_add_f32 v[28:29], v[28:29], v[48:49]
	v_mad_u32_u24 v42, v63, 12, 0
	v_pk_add_f32 v[52:53], v[30:31], v[52:53] op_sel_hi:[0,1] neg_lo:[0,1] neg_hi:[0,1]
	v_pk_add_f32 v[30:31], v[30:31], v[4:5]
	v_mul_f32_e32 v49, 0x3f5db3d7, v55
	ds_write2_b32 v42, v28, v29 offset1:1
	v_pk_add_f32 v[28:29], v[0:1], v[18:19]
	v_fmac_f32_e32 v45, 0xbf5db3d7, v47
	v_mov_b32_e32 v31, v53
	v_mov_b32_e32 v48, v10
	ds_write_b32 v42, v45 offset:8
	v_mul_f32_e32 v45, 0.5, v28
	v_pk_add_f32 v[30:31], v[48:49], v[30:31]
	v_mad_i32_i24 v10, v58, 12, 0
	v_mov_b32_e32 v44, v0
	ds_write2_b32 v10, v30, v31 offset1:1
	v_pk_add_f32 v[30:31], v[0:1], v[18:19] neg_lo:[0,1] neg_hi:[0,1]
	v_pk_add_f32 v[44:45], v[34:35], v[44:45] op_sel_hi:[0,1] neg_lo:[0,1] neg_hi:[0,1]
	v_pk_add_f32 v[34:35], v[34:35], v[0:1]
	v_mul_f32_e32 v49, 0x3f5db3d7, v31
	v_mov_b32_e32 v35, v45
	v_mov_b32_e32 v48, v18
	v_fmac_f32_e32 v53, 0xbf5db3d7, v55
	v_pk_add_f32 v[34:35], v[48:49], v[34:35]
	v_pk_add_f32 v[48:49], v[2:3], v[8:9]
	v_mad_i32_i24 v23, v73, 12, 0
	ds_write_b32 v10, v53 offset:8
	ds_write2_b32 v23, v34, v35 offset1:1
	v_mul_f32_e32 v35, 0.5, v48
	v_fmac_f32_e32 v45, 0xbf5db3d7, v31
	v_mov_b32_e32 v34, v8
	ds_write_b32 v23, v45 offset:8
	v_pk_add_f32 v[44:45], v[8:9], v[2:3] neg_lo:[0,1] neg_hi:[0,1]
	v_pk_add_f32 v[34:35], v[38:39], v[34:35] op_sel_hi:[0,1] neg_lo:[0,1] neg_hi:[0,1]
	v_pk_add_f32 v[38:39], v[38:39], v[8:9]
	v_mul_f32_e32 v53, 0x3f5db3d7, v45
	v_mov_b32_e32 v39, v35
	v_mov_b32_e32 v52, v2
	v_mad_i32_i24 v47, v33, 12, 0
	v_fmac_f32_e32 v35, 0xbf5db3d7, v45
	v_pk_add_f32 v[38:39], v[52:53], v[38:39]
	ds_write_b32 v47, v35 offset:8
	s_waitcnt vmcnt(0)
	v_pk_add_f32 v[34:35], v[12:13], v[20:21]
	ds_write2_b32 v47, v38, v39 offset1:1
	v_mul_f32_e32 v39, 0.5, v34
	v_mov_b32_e32 v38, v20
	v_pk_add_f32 v[38:39], v[40:41], v[38:39] op_sel_hi:[0,1] neg_lo:[0,1] neg_hi:[0,1]
	v_pk_add_f32 v[40:41], v[40:41], v[20:21]
	v_pk_add_f32 v[52:53], v[20:21], v[12:13] neg_lo:[0,1] neg_hi:[0,1]
	v_mov_b32_e32 v41, v39
	v_mul_f32_e32 v57, 0x3f5db3d7, v53
	v_mov_b32_e32 v56, v12
	v_mad_i32_i24 v45, v37, 12, 0
	v_fmac_f32_e32 v39, 0xbf5db3d7, v53
	v_mov_b32_e32 v0, v15
	v_pk_add_f32 v[40:41], v[56:57], v[40:41]
	ds_write_b32 v45, v39 offset:8
	v_mul_f32_e32 v39, 0.5, v43
	v_mov_b32_e32 v38, v15
	v_pk_add_f32 v[14:15], v[36:37], v[0:1] op_sel_hi:[0,1]
	v_mov_b32_e32 v0, v7
	ds_write2_b32 v45, v40, v41 offset1:1
	v_pk_add_f32 v[38:39], v[36:37], v[38:39] op_sel_hi:[0,1] neg_lo:[0,1] neg_hi:[0,1]
	v_mul_f32_e32 v41, 0x3f5db3d7, v46
	v_mov_b32_e32 v40, v7
	v_pk_add_f32 v[6:7], v[14:15], v[0:1] op_sel_hi:[1,0]
	v_lshlrev_b32_e32 v0, 3, v63
	v_sub_u32_e32 v12, v42, v0
	v_lshlrev_b32_e32 v0, 3, v33
	v_lshlrev_b32_e32 v2, 3, v37
	;; [unrolled: 1-line block ×4, first 2 shown]
	v_pk_add_f32 v[40:41], v[38:39], v[40:41] neg_lo:[0,1] neg_hi:[0,1]
	s_waitcnt lgkmcnt(0)
	; wave barrier
	s_waitcnt lgkmcnt(0)
	v_sub_u32_e32 v0, v47, v0
	v_sub_u32_e32 v4, v45, v2
	v_add_u32_e32 v15, 0x400, v12
	v_add_u32_e32 v14, 0x800, v12
	v_sub_u32_e32 v28, v10, v20
	v_sub_u32_e32 v2, v23, v25
	v_add_u32_e32 v27, 0xc00, v12
	ds_read_b32 v36, v12
	ds_read_b32 v55, v28
	;; [unrolled: 1-line block ×5, first 2 shown]
	ds_read2_b32 v[56:57], v15 offset0:59 offset1:122
	ds_read2_b32 v[60:61], v14 offset0:55 offset1:118
	;; [unrolled: 1-line block ×5, first 2 shown]
	s_waitcnt lgkmcnt(0)
	; wave barrier
	s_waitcnt lgkmcnt(0)
	ds_write2_b32 v42, v6, v41 offset1:1
	v_mul_f32_e32 v7, 0.5, v51
	v_mov_b32_e32 v6, v5
	v_fmac_f32_e32 v39, 0x3f5db3d7, v46
	v_mov_b32_e32 v8, v5
	v_pk_add_f32 v[6:7], v[32:33], v[6:7] op_sel_hi:[0,1] neg_lo:[0,1] neg_hi:[0,1]
	v_mov_b32_e32 v40, v11
	v_mul_f32_e32 v41, 0x3f5db3d7, v54
	ds_write_b32 v42, v39 offset:8
	v_pk_add_f32 v[38:39], v[32:33], v[8:9] op_sel_hi:[0,1]
	v_mov_b32_e32 v8, v11
	v_pk_add_f32 v[40:41], v[6:7], v[40:41] neg_lo:[0,1] neg_hi:[0,1]
	v_fmac_f32_e32 v7, 0x3f5db3d7, v54
	v_pk_add_f32 v[38:39], v[38:39], v[8:9] op_sel_hi:[1,0]
	ds_write_b32 v10, v7 offset:8
	v_mul_f32_e32 v7, 0.5, v29
	v_mov_b32_e32 v6, v1
	v_mov_b32_e32 v8, v1
	ds_write2_b32 v10, v38, v41 offset1:1
	v_pk_add_f32 v[38:39], v[26:27], v[8:9] op_sel_hi:[0,1]
	v_pk_add_f32 v[6:7], v[26:27], v[6:7] op_sel_hi:[0,1] neg_lo:[0,1] neg_hi:[0,1]
	v_mov_b32_e32 v8, v19
	v_mov_b32_e32 v18, v19
	v_mul_f32_e32 v19, 0x3f5db3d7, v30
	v_pk_add_f32 v[38:39], v[38:39], v[8:9] op_sel_hi:[1,0]
	v_pk_add_f32 v[18:19], v[6:7], v[18:19] neg_lo:[0,1] neg_hi:[0,1]
	ds_write2_b32 v23, v38, v19 offset1:1
	v_mul_f32_e32 v19, 0.5, v49
	v_fmac_f32_e32 v7, 0x3f5db3d7, v30
	v_mov_b32_e32 v6, v9
	v_mov_b32_e32 v18, v9
	v_mul_f32_e32 v31, 0x3f5db3d7, v44
	ds_write_b32 v23, v7 offset:8
	v_pk_add_f32 v[6:7], v[24:25], v[6:7] op_sel_hi:[0,1]
	v_pk_add_f32 v[8:9], v[24:25], v[18:19] op_sel_hi:[0,1] neg_lo:[0,1] neg_hi:[0,1]
	v_mov_b32_e32 v18, v3
	v_mov_b32_e32 v30, v3
	s_movk_i32 s0, 0xab
	v_pk_add_f32 v[6:7], v[6:7], v[18:19] op_sel_hi:[1,0]
	v_pk_add_f32 v[18:19], v[8:9], v[30:31] neg_lo:[0,1] neg_hi:[0,1]
	v_mul_lo_u16_sdwa v1, v63, s0 dst_sel:DWORD dst_unused:UNUSED_PAD src0_sel:BYTE_0 src1_sel:DWORD
	v_mul_f32_e32 v35, 0.5, v35
	v_fmac_f32_e32 v9, 0x3f5db3d7, v44
	ds_write2_b32 v47, v6, v19 offset1:1
	ds_write_b32 v47, v9 offset:8
	v_mov_b32_e32 v6, v21
	v_mov_b32_e32 v34, v21
	v_lshrrev_b16_e32 v1, 9, v1
	v_mul_lo_u16_sdwa v11, v58, s0 dst_sel:DWORD dst_unused:UNUSED_PAD src0_sel:BYTE_0 src1_sel:DWORD
	v_mul_f32_e32 v39, 0x3f5db3d7, v52
	v_pk_add_f32 v[6:7], v[22:23], v[6:7] op_sel_hi:[0,1]
	v_pk_add_f32 v[8:9], v[22:23], v[34:35] op_sel_hi:[0,1] neg_lo:[0,1] neg_hi:[0,1]
	v_mov_b32_e32 v18, v13
	v_mov_b32_e32 v38, v13
	v_mul_lo_u16_e32 v3, 3, v1
	v_lshrrev_b16_e32 v13, 9, v11
	v_pk_add_f32 v[6:7], v[6:7], v[18:19] op_sel_hi:[1,0]
	v_pk_add_f32 v[18:19], v[8:9], v[38:39] neg_lo:[0,1] neg_hi:[0,1]
	v_sub_u16_e32 v3, v63, v3
	v_mov_b32_e32 v5, 4
	v_mul_lo_u16_e32 v11, 3, v13
	v_fmac_f32_e32 v9, 0x3f5db3d7, v52
	ds_write2_b32 v45, v6, v19 offset1:1
	ds_write_b32 v45, v9 offset:8
	v_lshlrev_b32_sdwa v6, v5, v3 dst_sel:DWORD dst_unused:UNUSED_PAD src0_sel:DWORD src1_sel:BYTE_0
	v_sub_u16_e32 v21, v58, v11
	s_waitcnt lgkmcnt(0)
	; wave barrier
	s_waitcnt lgkmcnt(0)
	global_load_dwordx4 v[6:9], v6, s[4:5]
	v_lshlrev_b32_sdwa v11, v5, v21 dst_sel:DWORD dst_unused:UNUSED_PAD src0_sel:DWORD src1_sel:BYTE_0
	global_load_dwordx4 v[38:41], v11, s[4:5]
	v_mul_lo_u16_sdwa v11, v73, s0 dst_sel:DWORD dst_unused:UNUSED_PAD src0_sel:BYTE_0 src1_sel:DWORD
	v_lshrrev_b16_e32 v22, 9, v11
	v_mul_lo_u16_e32 v11, 3, v22
	v_sub_u16_e32 v24, v73, v11
	v_lshlrev_b32_sdwa v11, v5, v24 dst_sel:DWORD dst_unused:UNUSED_PAD src0_sel:DWORD src1_sel:BYTE_0
	global_load_dwordx4 v[42:45], v11, s[4:5]
	v_mul_lo_u16_sdwa v11, v33, s0 dst_sel:DWORD dst_unused:UNUSED_PAD src0_sel:BYTE_0 src1_sel:DWORD
	v_lshrrev_b16_e32 v26, 9, v11
	v_mul_lo_u16_e32 v11, 3, v26
	v_sub_u16_e32 v29, v33, v11
	v_lshlrev_b32_sdwa v11, v5, v29 dst_sel:DWORD dst_unused:UNUSED_PAD src0_sel:DWORD src1_sel:BYTE_0
	s_mov_b32 s0, 0xaaab
	global_load_dwordx4 v[46:49], v11, s[4:5]
	v_mul_u32_u24_sdwa v11, v37, s0 dst_sel:DWORD dst_unused:UNUSED_PAD src0_sel:WORD_0 src1_sel:DWORD
	v_lshrrev_b32_e32 v32, 17, v11
	v_mul_lo_u16_e32 v11, 3, v32
	v_sub_u16_e32 v54, v37, v11
	v_lshlrev_b32_e32 v11, 4, v54
	global_load_dwordx4 v[50:53], v11, s[4:5]
	ds_read2_b32 v[18:19], v15 offset0:59 offset1:122
	ds_read2_b32 v[30:31], v14 offset0:55 offset1:118
	;; [unrolled: 1-line block ×3, first 2 shown]
	v_mul_u32_u24_e32 v1, 36, v1
	s_mov_b32 s0, 0xe38f
	s_waitcnt vmcnt(4) lgkmcnt(2)
	v_mul_f32_e32 v11, v18, v7
	v_fma_f32 v11, v56, v6, -v11
	v_mul_f32_e32 v56, v56, v7
	v_fmac_f32_e32 v56, v18, v6
	s_waitcnt lgkmcnt(1)
	v_mul_f32_e32 v6, v31, v9
	v_fma_f32 v18, v61, v8, -v6
	v_mul_f32_e32 v61, v61, v9
	s_waitcnt vmcnt(3)
	v_mul_f32_e32 v6, v19, v39
	v_fmac_f32_e32 v61, v31, v8
	v_fma_f32 v31, v57, v38, -v6
	v_mul_f32_e32 v39, v57, v39
	s_waitcnt lgkmcnt(0)
	v_mul_f32_e32 v6, v34, v41
	v_fmac_f32_e32 v39, v19, v38
	v_fma_f32 v19, v64, v40, -v6
	ds_read2_b32 v[6:7], v15 offset0:185 offset1:248
	v_mul_f32_e32 v38, v64, v41
	s_waitcnt vmcnt(2)
	v_mul_f32_e32 v8, v35, v45
	v_fmac_f32_e32 v38, v34, v40
	v_fma_f32 v34, v65, v44, -v8
	v_mul_f32_e32 v40, v65, v45
	s_waitcnt lgkmcnt(0)
	v_mul_f32_e32 v8, v6, v43
	v_fmac_f32_e32 v40, v35, v44
	v_fma_f32 v35, v66, v42, -v8
	ds_read2_b32 v[8:9], v27 offset0:51 offset1:114
	v_mul_f32_e32 v41, v66, v43
	v_fmac_f32_e32 v41, v6, v42
	s_waitcnt vmcnt(1)
	v_mul_f32_e32 v6, v7, v47
	v_mul_f32_e32 v42, v67, v47
	;; [unrolled: 1-line block ×3, first 2 shown]
	v_fma_f32 v6, v67, v46, -v6
	v_fmac_f32_e32 v42, v7, v46
	s_waitcnt lgkmcnt(0)
	v_mul_f32_e32 v7, v8, v49
	v_fmac_f32_e32 v43, v8, v48
	s_waitcnt vmcnt(0)
	v_mul_f32_e32 v8, v30, v51
	v_mul_f32_e32 v44, v60, v51
	;; [unrolled: 1-line block ×3, first 2 shown]
	v_add_f32_e32 v46, v11, v18
	v_fma_f32 v8, v60, v50, -v8
	v_fmac_f32_e32 v44, v30, v50
	v_mul_f32_e32 v30, v9, v53
	v_fmac_f32_e32 v45, v9, v52
	v_add_f32_e32 v9, v36, v11
	v_fmac_f32_e32 v36, -0.5, v46
	v_sub_f32_e32 v46, v56, v61
	ds_read_b32 v57, v12
	ds_read_b32 v60, v28
	;; [unrolled: 1-line block ×5, first 2 shown]
	v_fmamk_f32 v47, v46, 0x3f5db3d7, v36
	v_fmac_f32_e32 v36, 0xbf5db3d7, v46
	s_waitcnt lgkmcnt(4)
	v_add_f32_e32 v46, v57, v56
	v_add_f32_e32 v67, v46, v61
	;; [unrolled: 1-line block ×4, first 2 shown]
	v_fmac_f32_e32 v57, -0.5, v46
	v_sub_f32_e32 v11, v11, v18
	v_add_f32_e32 v18, v31, v19
	v_fmamk_f32 v56, v11, 0xbf5db3d7, v57
	v_fmac_f32_e32 v57, 0x3f5db3d7, v11
	v_add_f32_e32 v11, v55, v31
	v_fmac_f32_e32 v55, -0.5, v18
	v_sub_f32_e32 v18, v39, v38
	v_fmamk_f32 v46, v18, 0x3f5db3d7, v55
	v_fmac_f32_e32 v55, 0xbf5db3d7, v18
	s_waitcnt lgkmcnt(3)
	v_add_f32_e32 v18, v60, v39
	v_add_f32_e32 v61, v18, v38
	v_add_f32_e32 v18, v39, v38
	v_add_f32_e32 v38, v11, v19
	v_fmac_f32_e32 v60, -0.5, v18
	v_sub_f32_e32 v11, v31, v19
	v_add_f32_e32 v18, v35, v34
	v_fmamk_f32 v31, v11, 0xbf5db3d7, v60
	v_fmac_f32_e32 v60, 0x3f5db3d7, v11
	v_add_f32_e32 v11, v59, v35
	v_fmac_f32_e32 v59, -0.5, v18
	v_sub_f32_e32 v18, v41, v40
	v_fmamk_f32 v19, v18, 0x3f5db3d7, v59
	v_fmac_f32_e32 v59, 0xbf5db3d7, v18
	s_waitcnt lgkmcnt(2)
	v_add_f32_e32 v18, v64, v41
	v_fma_f32 v7, v68, v48, -v7
	v_add_f32_e32 v39, v18, v40
	v_add_f32_e32 v18, v41, v40
	;; [unrolled: 1-line block ×3, first 2 shown]
	v_fmac_f32_e32 v64, -0.5, v18
	v_sub_f32_e32 v11, v35, v34
	v_add_f32_e32 v18, v6, v7
	v_fmamk_f32 v34, v11, 0xbf5db3d7, v64
	v_fmac_f32_e32 v64, 0x3f5db3d7, v11
	v_add_f32_e32 v11, v62, v6
	v_fmac_f32_e32 v62, -0.5, v18
	v_sub_f32_e32 v18, v42, v43
	v_fmamk_f32 v35, v18, 0x3f5db3d7, v62
	v_fmac_f32_e32 v62, 0xbf5db3d7, v18
	s_waitcnt lgkmcnt(1)
	v_add_f32_e32 v18, v65, v42
	v_fma_f32 v30, v69, v52, -v30
	v_add_f32_e32 v41, v18, v43
	v_add_f32_e32 v18, v42, v43
	;; [unrolled: 1-line block ×3, first 2 shown]
	v_fmac_f32_e32 v65, -0.5, v18
	v_sub_f32_e32 v6, v6, v7
	v_add_f32_e32 v11, v8, v30
	v_fmamk_f32 v7, v6, 0xbf5db3d7, v65
	v_fmac_f32_e32 v65, 0x3f5db3d7, v6
	v_add_f32_e32 v6, v70, v8
	v_fmac_f32_e32 v70, -0.5, v11
	v_sub_f32_e32 v11, v44, v45
	v_fmamk_f32 v18, v11, 0x3f5db3d7, v70
	v_fmac_f32_e32 v70, 0xbf5db3d7, v11
	s_waitcnt lgkmcnt(0)
	v_add_f32_e32 v11, v66, v44
	v_add_f32_e32 v43, v11, v45
	v_add_f32_e32 v11, v44, v45
	v_fmac_f32_e32 v66, -0.5, v11
	v_mov_b32_e32 v11, 2
	v_sub_f32_e32 v8, v8, v30
	v_lshlrev_b32_sdwa v3, v11, v3 dst_sel:DWORD dst_unused:UNUSED_PAD src0_sel:DWORD src1_sel:BYTE_0
	v_add_f32_e32 v6, v6, v30
	v_fmamk_f32 v30, v8, 0xbf5db3d7, v66
	v_fmac_f32_e32 v66, 0x3f5db3d7, v8
	v_add3_u32 v1, 0, v1, v3
	v_mul_u32_u24_e32 v3, 36, v13
	v_lshlrev_b32_sdwa v8, v11, v21 dst_sel:DWORD dst_unused:UNUSED_PAD src0_sel:DWORD src1_sel:BYTE_0
	s_waitcnt lgkmcnt(0)
	; wave barrier
	ds_write2_b32 v1, v9, v47 offset1:3
	ds_write_b32 v1, v36 offset:24
	v_add3_u32 v3, 0, v3, v8
	v_mul_u32_u24_e32 v8, 36, v22
	v_lshlrev_b32_sdwa v9, v11, v24 dst_sel:DWORD dst_unused:UNUSED_PAD src0_sel:DWORD src1_sel:BYTE_0
	v_add3_u32 v8, 0, v8, v9
	v_mul_u32_u24_e32 v9, 36, v26
	v_lshlrev_b32_sdwa v13, v11, v29 dst_sel:DWORD dst_unused:UNUSED_PAD src0_sel:DWORD src1_sel:BYTE_0
	ds_write2_b32 v3, v38, v46 offset1:3
	ds_write_b32 v3, v55 offset:24
	ds_write2_b32 v8, v40, v19 offset1:3
	ds_write_b32 v8, v59 offset:24
	v_add3_u32 v9, 0, v9, v13
	v_mul_u32_u24_e32 v13, 36, v32
	v_lshlrev_b32_e32 v19, 2, v54
	v_add3_u32 v13, 0, v13, v19
	ds_write2_b32 v9, v42, v35 offset1:3
	ds_write_b32 v9, v62 offset:24
	ds_write2_b32 v13, v6, v18 offset1:3
	ds_write_b32 v13, v70 offset:24
	s_waitcnt lgkmcnt(0)
	; wave barrier
	s_waitcnt lgkmcnt(0)
	ds_read2_b32 v[18:19], v15 offset0:59 offset1:122
	ds_read2_b32 v[46:47], v14 offset0:55 offset1:118
	;; [unrolled: 1-line block ×5, first 2 shown]
	ds_read_b32 v21, v12
	ds_read_b32 v22, v28
	;; [unrolled: 1-line block ×5, first 2 shown]
	s_waitcnt lgkmcnt(0)
	; wave barrier
	s_waitcnt lgkmcnt(0)
	ds_write2_b32 v1, v67, v56 offset1:3
	ds_write_b32 v1, v57 offset:24
	ds_write2_b32 v3, v61, v31 offset1:3
	ds_write_b32 v3, v60 offset:24
	ds_write2_b32 v8, v39, v34 offset1:3
	ds_write_b32 v8, v64 offset:24
	ds_write2_b32 v9, v41, v7 offset1:3
	ds_write_b32 v9, v65 offset:24
	ds_write2_b32 v13, v43, v30 offset1:3
	ds_write_b32 v13, v66 offset:24
	v_mov_b32_e32 v1, 57
	v_mul_lo_u16_sdwa v3, v63, v1 dst_sel:DWORD dst_unused:UNUSED_PAD src0_sel:BYTE_0 src1_sel:DWORD
	v_lshrrev_b16_e32 v3, 9, v3
	v_mul_lo_u16_e32 v6, 9, v3
	v_sub_u16_e32 v13, v63, v6
	v_mul_lo_u16_sdwa v30, v58, v1 dst_sel:DWORD dst_unused:UNUSED_PAD src0_sel:BYTE_0 src1_sel:DWORD
	v_lshlrev_b32_sdwa v6, v5, v13 dst_sel:DWORD dst_unused:UNUSED_PAD src0_sel:DWORD src1_sel:BYTE_0
	v_lshrrev_b16_e32 v59, 9, v30
	s_waitcnt lgkmcnt(0)
	; wave barrier
	s_waitcnt lgkmcnt(0)
	global_load_dwordx4 v[6:9], v6, s[4:5] offset:48
	v_mul_lo_u16_e32 v30, 9, v59
	v_sub_u16_e32 v62, v58, v30
	v_lshlrev_b32_sdwa v30, v5, v62 dst_sel:DWORD dst_unused:UNUSED_PAD src0_sel:DWORD src1_sel:BYTE_0
	global_load_dwordx4 v[38:41], v30, s[4:5] offset:48
	v_mul_lo_u16_sdwa v30, v73, v1 dst_sel:DWORD dst_unused:UNUSED_PAD src0_sel:BYTE_0 src1_sel:DWORD
	v_lshrrev_b16_e32 v64, 9, v30
	v_mul_lo_u16_e32 v30, 9, v64
	v_sub_u16_e32 v65, v73, v30
	v_mul_lo_u16_sdwa v1, v33, v1 dst_sel:DWORD dst_unused:UNUSED_PAD src0_sel:BYTE_0 src1_sel:DWORD
	v_lshlrev_b32_sdwa v30, v5, v65 dst_sel:DWORD dst_unused:UNUSED_PAD src0_sel:DWORD src1_sel:BYTE_0
	v_lshrrev_b16_e32 v1, 9, v1
	global_load_dwordx4 v[42:45], v30, s[4:5] offset:48
	v_mul_lo_u16_e32 v30, 9, v1
	v_sub_u16_e32 v66, v33, v30
	v_lshlrev_b32_sdwa v5, v5, v66 dst_sel:DWORD dst_unused:UNUSED_PAD src0_sel:DWORD src1_sel:BYTE_0
	global_load_dwordx4 v[30:33], v5, s[4:5] offset:48
	v_mul_u32_u24_sdwa v5, v37, s0 dst_sel:DWORD dst_unused:UNUSED_PAD src0_sel:WORD_0 src1_sel:DWORD
	v_lshrrev_b32_e32 v5, 19, v5
	v_mul_lo_u16_e32 v34, 9, v5
	v_sub_u16_e32 v67, v37, v34
	v_lshlrev_b32_e32 v34, 4, v67
	global_load_dwordx4 v[34:37], v34, s[4:5] offset:48
	ds_read2_b32 v[54:55], v15 offset0:59 offset1:122
	ds_read2_b32 v[56:57], v14 offset0:55 offset1:118
	;; [unrolled: 1-line block ×3, first 2 shown]
	v_mul_u32_u24_e32 v3, 0x6c, v3
	v_mul_u32_u24_e32 v1, 0x6c, v1
	;; [unrolled: 1-line block ×3, first 2 shown]
	s_mov_b32 s0, 0x3e9e377a
	s_mov_b32 s1, 0x3f167918
	s_waitcnt vmcnt(4) lgkmcnt(2)
	v_mul_f32_e32 v68, v54, v7
	v_fma_f32 v68, v18, v6, -v68
	v_mul_f32_e32 v18, v18, v7
	v_fmac_f32_e32 v18, v54, v6
	s_waitcnt lgkmcnt(1)
	v_mul_f32_e32 v6, v57, v9
	v_fma_f32 v54, v47, v8, -v6
	v_mul_f32_e32 v47, v47, v9
	s_waitcnt vmcnt(3)
	v_mul_f32_e32 v6, v55, v39
	v_fmac_f32_e32 v47, v57, v8
	v_fma_f32 v57, v19, v38, -v6
	v_mul_f32_e32 v19, v19, v39
	s_waitcnt lgkmcnt(0)
	v_mul_f32_e32 v6, v60, v41
	v_fmac_f32_e32 v19, v55, v38
	v_fma_f32 v38, v48, v40, -v6
	ds_read2_b32 v[6:7], v15 offset0:185 offset1:248
	v_mul_f32_e32 v39, v48, v41
	s_waitcnt vmcnt(2)
	v_mul_f32_e32 v8, v61, v45
	v_fmac_f32_e32 v39, v60, v40
	v_fma_f32 v40, v49, v44, -v8
	v_mul_f32_e32 v41, v49, v45
	s_waitcnt lgkmcnt(0)
	v_mul_f32_e32 v8, v6, v43
	v_fmac_f32_e32 v41, v61, v44
	v_fma_f32 v44, v50, v42, -v8
	ds_read2_b32 v[8:9], v27 offset0:51 offset1:114
	v_mul_f32_e32 v43, v50, v43
	v_fmac_f32_e32 v43, v6, v42
	s_waitcnt vmcnt(1)
	v_mul_f32_e32 v6, v7, v31
	v_mul_f32_e32 v31, v51, v31
	v_fma_f32 v6, v51, v30, -v6
	v_fmac_f32_e32 v31, v7, v30
	s_waitcnt lgkmcnt(0)
	v_mul_f32_e32 v7, v8, v33
	v_mul_f32_e32 v30, v52, v33
	v_fma_f32 v7, v52, v32, -v7
	v_fmac_f32_e32 v30, v8, v32
	s_waitcnt vmcnt(0)
	v_mul_f32_e32 v8, v56, v35
	v_mul_f32_e32 v32, v46, v35
	v_fma_f32 v8, v46, v34, -v8
	v_fmac_f32_e32 v32, v56, v34
	v_mul_f32_e32 v33, v9, v37
	v_mul_f32_e32 v34, v53, v37
	v_add_f32_e32 v42, v68, v54
	v_fma_f32 v33, v53, v36, -v33
	v_fmac_f32_e32 v34, v9, v36
	ds_read_b32 v35, v12
	ds_read_b32 v36, v28
	;; [unrolled: 1-line block ×5, first 2 shown]
	v_add_f32_e32 v9, v21, v68
	v_fmac_f32_e32 v21, -0.5, v42
	v_sub_f32_e32 v42, v18, v47
	v_fmamk_f32 v46, v42, 0x3f5db3d7, v21
	v_fmac_f32_e32 v21, 0xbf5db3d7, v42
	s_waitcnt lgkmcnt(4)
	v_add_f32_e32 v42, v35, v18
	v_add_f32_e32 v18, v18, v47
	;; [unrolled: 1-line block ×3, first 2 shown]
	v_fmac_f32_e32 v35, -0.5, v18
	v_sub_f32_e32 v18, v68, v54
	v_add_f32_e32 v42, v57, v38
	v_fmamk_f32 v47, v18, 0xbf5db3d7, v35
	v_fmac_f32_e32 v35, 0x3f5db3d7, v18
	v_add_f32_e32 v18, v22, v57
	v_fmac_f32_e32 v22, -0.5, v42
	v_sub_f32_e32 v42, v19, v39
	v_fmamk_f32 v49, v42, 0x3f5db3d7, v22
	v_fmac_f32_e32 v22, 0xbf5db3d7, v42
	s_waitcnt lgkmcnt(3)
	v_add_f32_e32 v42, v36, v19
	v_add_f32_e32 v19, v19, v39
	;; [unrolled: 1-line block ×3, first 2 shown]
	v_fmac_f32_e32 v36, -0.5, v19
	v_sub_f32_e32 v19, v57, v38
	v_add_f32_e32 v39, v44, v40
	v_add_f32_e32 v18, v18, v38
	v_fmamk_f32 v38, v19, 0xbf5db3d7, v36
	v_fmac_f32_e32 v36, 0x3f5db3d7, v19
	v_add_f32_e32 v19, v24, v44
	v_fmac_f32_e32 v24, -0.5, v39
	v_sub_f32_e32 v39, v43, v41
	v_fmamk_f32 v42, v39, 0x3f5db3d7, v24
	v_fmac_f32_e32 v24, 0xbf5db3d7, v39
	s_waitcnt lgkmcnt(2)
	v_add_f32_e32 v39, v37, v43
	v_add_f32_e32 v39, v39, v41
	;; [unrolled: 1-line block ×4, first 2 shown]
	v_fmac_f32_e32 v37, -0.5, v41
	v_sub_f32_e32 v40, v44, v40
	v_add_f32_e32 v43, v6, v7
	v_fmamk_f32 v41, v40, 0xbf5db3d7, v37
	v_fmac_f32_e32 v37, 0x3f5db3d7, v40
	v_add_f32_e32 v40, v26, v6
	v_fmac_f32_e32 v26, -0.5, v43
	v_sub_f32_e32 v43, v31, v30
	v_fmamk_f32 v44, v43, 0x3f5db3d7, v26
	v_fmac_f32_e32 v26, 0xbf5db3d7, v43
	s_waitcnt lgkmcnt(1)
	v_add_f32_e32 v43, v45, v31
	v_add_f32_e32 v51, v43, v30
	;; [unrolled: 1-line block ×3, first 2 shown]
	v_fmac_f32_e32 v45, -0.5, v30
	v_sub_f32_e32 v6, v6, v7
	v_add_f32_e32 v30, v8, v33
	v_add_f32_e32 v40, v40, v7
	v_fmamk_f32 v7, v6, 0xbf5db3d7, v45
	v_fmac_f32_e32 v45, 0x3f5db3d7, v6
	v_add_f32_e32 v6, v29, v8
	v_fmac_f32_e32 v29, -0.5, v30
	v_sub_f32_e32 v30, v32, v34
	v_fmamk_f32 v31, v30, 0x3f5db3d7, v29
	v_fmac_f32_e32 v29, 0xbf5db3d7, v30
	s_waitcnt lgkmcnt(0)
	v_add_f32_e32 v30, v4, v32
	v_add_f32_e32 v32, v32, v34
	v_fmac_f32_e32 v4, -0.5, v32
	v_sub_f32_e32 v8, v8, v33
	v_fmamk_f32 v32, v8, 0xbf5db3d7, v4
	v_fmac_f32_e32 v4, 0x3f5db3d7, v8
	v_lshlrev_b32_sdwa v8, v11, v13 dst_sel:DWORD dst_unused:UNUSED_PAD src0_sel:DWORD src1_sel:BYTE_0
	v_add_f32_e32 v9, v9, v54
	v_add3_u32 v3, 0, v3, v8
	s_waitcnt lgkmcnt(0)
	; wave barrier
	ds_write2_b32 v3, v9, v46 offset1:9
	ds_write_b32 v3, v21 offset:72
	v_mul_u32_u24_e32 v8, 0x6c, v59
	v_lshlrev_b32_sdwa v9, v11, v62 dst_sel:DWORD dst_unused:UNUSED_PAD src0_sel:DWORD src1_sel:BYTE_0
	v_add3_u32 v13, 0, v8, v9
	v_mul_u32_u24_e32 v8, 0x6c, v64
	v_lshlrev_b32_sdwa v9, v11, v65 dst_sel:DWORD dst_unused:UNUSED_PAD src0_sel:DWORD src1_sel:BYTE_0
	v_add3_u32 v21, 0, v8, v9
	v_lshlrev_b32_sdwa v8, v11, v66 dst_sel:DWORD dst_unused:UNUSED_PAD src0_sel:DWORD src1_sel:BYTE_0
	v_add3_u32 v1, 0, v1, v8
	v_lshlrev_b32_e32 v8, 2, v67
	v_add_f32_e32 v6, v6, v33
	v_add3_u32 v5, 0, v5, v8
	v_add_f32_e32 v30, v30, v34
	ds_write2_b32 v13, v18, v49 offset1:9
	ds_write_b32 v13, v22 offset:72
	ds_write2_b32 v21, v19, v42 offset1:9
	ds_write_b32 v21, v24 offset:72
	;; [unrolled: 2-line block ×4, first 2 shown]
	s_waitcnt lgkmcnt(0)
	; wave barrier
	s_waitcnt lgkmcnt(0)
	ds_read2_b32 v[8:9], v12 offset1:252
	ds_read2_b32 v[18:19], v15 offset0:59 offset1:122
	ds_read2_b32 v[42:43], v14 offset0:55 offset1:118
	;; [unrolled: 1-line block ×3, first 2 shown]
	ds_read_b32 v22, v28
	ds_read2_b32 v[60:61], v15 offset0:185 offset1:248
	ds_read2_b32 v[74:75], v27 offset0:51 offset1:114
	ds_read_b32 v24, v0
	ds_read_b32 v62, v2
	s_waitcnt lgkmcnt(0)
	; wave barrier
	s_waitcnt lgkmcnt(0)
	ds_write2_b32 v3, v48, v47 offset1:9
	ds_write_b32 v3, v35 offset:72
	ds_write2_b32 v13, v50, v38 offset1:9
	ds_write_b32 v13, v36 offset:72
	;; [unrolled: 2-line block ×5, first 2 shown]
	v_mov_b32_e32 v1, 19
	v_mul_lo_u16_sdwa v3, v63, v1 dst_sel:DWORD dst_unused:UNUSED_PAD src0_sel:BYTE_0 src1_sel:DWORD
	v_lshrrev_b16_e32 v21, 9, v3
	v_mul_lo_u16_e32 v3, 27, v21
	v_sub_u16_e32 v29, v63, v3
	v_mov_b32_e32 v3, 5
	v_lshlrev_b32_sdwa v13, v3, v29 dst_sel:DWORD dst_unused:UNUSED_PAD src0_sel:DWORD src1_sel:BYTE_0
	s_waitcnt lgkmcnt(0)
	; wave barrier
	s_waitcnt lgkmcnt(0)
	global_load_dwordx4 v[4:7], v13, s[4:5] offset:192
	global_load_dwordx4 v[30:33], v13, s[4:5] offset:208
	v_mul_lo_u16_sdwa v13, v73, v1 dst_sel:DWORD dst_unused:UNUSED_PAD src0_sel:BYTE_0 src1_sel:DWORD
	v_lshrrev_b16_e32 v72, 9, v13
	v_mul_lo_u16_e32 v13, 27, v72
	v_sub_u16_e32 v77, v73, v13
	v_lshlrev_b32_sdwa v13, v3, v77 dst_sel:DWORD dst_unused:UNUSED_PAD src0_sel:DWORD src1_sel:BYTE_0
	global_load_dwordx4 v[34:37], v13, s[4:5] offset:192
	v_mul_lo_u16_sdwa v1, v58, v1 dst_sel:DWORD dst_unused:UNUSED_PAD src0_sel:BYTE_0 src1_sel:DWORD
	v_lshrrev_b16_e32 v86, 9, v1
	v_mul_lo_u16_e32 v1, 27, v86
	v_sub_u16_e32 v87, v58, v1
	v_lshlrev_b32_sdwa v1, v3, v87 dst_sel:DWORD dst_unused:UNUSED_PAD src0_sel:DWORD src1_sel:BYTE_0
	global_load_dwordx4 v[38:41], v1, s[4:5] offset:192
	global_load_dwordx4 v[64:67], v1, s[4:5] offset:208
	global_load_dwordx4 v[68:71], v13, s[4:5] offset:208
	ds_read2_b32 v[78:79], v15 offset0:59 offset1:122
	ds_read_b32 v0, v0
	ds_read2_b32 v[80:81], v14 offset0:55 offset1:118
	ds_read2_b32 v[82:83], v14 offset0:181 offset1:244
	;; [unrolled: 1-line block ×3, first 2 shown]
	ds_read_b32 v13, v2
	v_mul_u32_u24_e32 v21, 0x21c, v21
	s_waitcnt vmcnt(5)
	v_mul_f32_e32 v45, v24, v5
	s_waitcnt lgkmcnt(4)
	v_mul_f32_e32 v1, v0, v5
	v_fmac_f32_e32 v45, v0, v4
	v_mul_f32_e32 v0, v79, v7
	v_fma_f32 v56, v19, v6, -v0
	s_waitcnt vmcnt(4) lgkmcnt(3)
	v_mul_f32_e32 v0, v80, v31
	v_fma_f32 v57, v42, v30, -v0
	s_waitcnt lgkmcnt(2)
	v_mul_f32_e32 v0, v83, v33
	v_fma_f32 v59, v53, v32, -v0
	s_waitcnt vmcnt(3)
	v_mul_f32_e32 v0, v78, v35
	v_fma_f32 v2, v18, v34, -v0
	s_waitcnt lgkmcnt(1)
	v_mul_f32_e32 v0, v85, v37
	v_fma_f32 v55, v24, v4, -v1
	v_mul_f32_e32 v48, v42, v31
	v_fma_f32 v4, v61, v36, -v0
	ds_read2_b32 v[0:1], v12 offset1:252
	v_fmac_f32_e32 v48, v80, v30
	ds_read2_b32 v[30:31], v27 offset0:51 offset1:114
	v_mul_f32_e32 v46, v19, v7
	v_fmac_f32_e32 v46, v79, v6
	s_waitcnt vmcnt(2)
	v_mul_f32_e32 v6, v84, v41
	v_fma_f32 v47, v60, v40, -v6
	s_waitcnt lgkmcnt(1)
	v_mul_f32_e32 v6, v1, v39
	v_mul_f32_e32 v26, v18, v35
	v_fma_f32 v49, v9, v38, -v6
	s_waitcnt vmcnt(0) lgkmcnt(0)
	v_mul_f32_e32 v6, v31, v71
	v_fmac_f32_e32 v26, v78, v34
	v_fma_f32 v34, v75, v70, -v6
	v_add_f32_e32 v6, v56, v57
	v_mul_f32_e32 v50, v53, v33
	v_mul_f32_e32 v33, v9, v39
	v_fma_f32 v24, -0.5, v6, v8
	v_add_f32_e32 v6, v55, v59
	v_fmac_f32_e32 v50, v83, v32
	v_fmac_f32_e32 v33, v1, v38
	v_mul_f32_e32 v1, v81, v65
	v_mul_f32_e32 v44, v74, v67
	v_lshlrev_b32_sdwa v9, v11, v29 dst_sel:DWORD dst_unused:UNUSED_PAD src0_sel:DWORD src1_sel:BYTE_0
	v_mul_f32_e32 v29, v75, v71
	v_add_f32_e32 v18, v8, v55
	v_sub_f32_e32 v39, v46, v48
	v_fmac_f32_e32 v8, -0.5, v6
	v_fma_f32 v51, v43, v64, -v1
	v_mul_f32_e32 v1, v30, v67
	v_fmac_f32_e32 v44, v30, v66
	v_fmac_f32_e32 v29, v31, v70
	v_sub_f32_e32 v38, v45, v50
	v_fmamk_f32 v30, v39, 0xbf737871, v8
	v_sub_f32_e32 v6, v56, v55
	v_sub_f32_e32 v31, v57, v59
	v_fmac_f32_e32 v8, 0x3f737871, v39
	v_fma_f32 v54, v74, v66, -v1
	v_mul_f32_e32 v1, v82, v69
	v_fmac_f32_e32 v30, 0x3f167918, v38
	v_add_f32_e32 v6, v6, v31
	v_fmac_f32_e32 v8, 0xbf167918, v38
	v_mul_f32_e32 v19, v60, v41
	v_fma_f32 v32, v52, v68, -v1
	v_fmac_f32_e32 v30, 0x3e9e377a, v6
	v_fmac_f32_e32 v8, 0x3e9e377a, v6
	v_add3_u32 v60, 0, v21, v9
	v_mul_f32_e32 v3, v85, v36
	v_mul_f32_e32 v5, v61, v37
	v_mul_f32_e32 v7, v52, v69
	ds_read_b32 v1, v28
	v_add_f32_e32 v6, v4, v32
	s_waitcnt lgkmcnt(0)
	; wave barrier
	s_waitcnt lgkmcnt(0)
	ds_write2_b32 v60, v30, v8 offset0:54 offset1:81
	v_add_f32_e32 v8, v2, v34
	v_fmac_f32_e32 v19, v84, v40
	v_fmac_f32_e32 v7, v82, v68
	v_add_f32_e32 v40, v62, v2
	v_fma_f32 v41, -0.5, v6, v62
	v_sub_f32_e32 v6, v34, v32
	v_fmac_f32_e32 v62, -0.5, v8
	v_pk_add_f32 v[8:9], v[2:3], v[4:5]
	v_pk_add_f32 v[30:31], v[2:3], v[4:5] neg_lo:[0,1] neg_hi:[0,1]
	v_pk_add_f32 v[36:37], v[8:9], v[6:7] neg_lo:[0,1] neg_hi:[0,1]
	v_lshlrev_b32_sdwa v3, v11, v87 dst_sel:DWORD dst_unused:UNUSED_PAD src0_sel:DWORD src1_sel:BYTE_0
	v_lshlrev_b32_sdwa v5, v11, v77 dst_sel:DWORD dst_unused:UNUSED_PAD src0_sel:DWORD src1_sel:BYTE_0
	v_sub_f32_e32 v8, v55, v56
	v_sub_f32_e32 v11, v59, v57
	v_add_f32_e32 v8, v8, v11
	v_fmamk_f32 v11, v38, 0x3f737871, v24
	v_add_f32_e32 v18, v18, v56
	v_fmac_f32_e32 v24, 0xbf737871, v38
	v_fmac_f32_e32 v11, 0x3f167918, v39
	v_add_f32_e32 v18, v18, v57
	v_fmac_f32_e32 v24, 0xbf167918, v39
	v_add_f32_e32 v18, v18, v59
	v_fmac_f32_e32 v11, 0x3e9e377a, v8
	v_mul_f32_e32 v35, v43, v65
	v_fmac_f32_e32 v24, 0x3e9e377a, v8
	v_add_f32_e32 v8, v47, v51
	ds_write2_b32 v60, v18, v11 offset1:27
	v_sub_f32_e32 v11, v49, v47
	v_sub_f32_e32 v18, v54, v51
	v_fmac_f32_e32 v35, v81, v64
	v_fma_f32 v8, -0.5, v8, v22
	v_add_f32_e32 v11, v11, v18
	v_sub_f32_e32 v18, v33, v44
	v_pk_add_f32 v[30:31], v[30:31], v[6:7]
	v_fmamk_f32 v21, v18, 0x3f737871, v8
	v_sub_f32_e32 v36, v19, v35
	v_fmac_f32_e32 v8, 0xbf737871, v18
	v_mov_b32_e32 v31, v37
	v_fmamk_f32 v6, v37, 0xbf737871, v62
	v_fmac_f32_e32 v62, 0x3f737871, v37
	v_fmac_f32_e32 v21, 0x3f167918, v36
	;; [unrolled: 1-line block ×3, first 2 shown]
	v_add_f32_e32 v37, v49, v54
	v_fmac_f32_e32 v21, 0x3e9e377a, v11
	v_fmac_f32_e32 v8, 0x3e9e377a, v11
	v_add_f32_e32 v11, v22, v49
	v_fmac_f32_e32 v22, -0.5, v37
	v_sub_f32_e32 v37, v47, v49
	v_sub_f32_e32 v38, v51, v54
	v_add_f32_e32 v37, v37, v38
	v_fmamk_f32 v38, v36, 0xbf737871, v22
	v_fmac_f32_e32 v22, 0x3f737871, v36
	v_sub_f32_e32 v36, v26, v29
	v_fmac_f32_e32 v38, 0x3f167918, v18
	v_fmac_f32_e32 v22, 0xbf167918, v18
	v_pk_mul_f32 v[30:31], v[30:31], s[0:1]
	v_fmamk_f32 v18, v36, 0x3f737871, v41
	v_add_f32_e32 v18, v31, v18
	v_fmac_f32_e32 v41, 0xbf737871, v36
	v_fmac_f32_e32 v38, 0x3e9e377a, v37
	;; [unrolled: 1-line block ×3, first 2 shown]
	v_add_f32_e32 v37, v30, v18
	v_sub_f32_e32 v18, v41, v31
	v_add_f32_e32 v18, v30, v18
	v_sub_f32_e32 v30, v4, v2
	v_sub_f32_e32 v31, v32, v34
	v_add_f32_e32 v30, v30, v31
	v_fmac_f32_e32 v6, 0x3f167918, v36
	v_fmac_f32_e32 v62, 0xbf167918, v36
	v_add_f32_e32 v11, v11, v47
	v_fmac_f32_e32 v6, 0x3e9e377a, v30
	v_fmac_f32_e32 v62, 0x3e9e377a, v30
	v_add_f32_e32 v11, v11, v51
	v_mul_u32_u24_e32 v30, 0x21c, v86
	ds_write_b32 v60, v24 offset:432
	v_add_f32_e32 v11, v11, v54
	v_add_f32_e32 v24, v40, v4
	v_add3_u32 v3, 0, v30, v3
	v_add_f32_e32 v24, v24, v32
	ds_write2_b32 v3, v11, v21 offset1:27
	ds_write2_b32 v3, v38, v22 offset0:54 offset1:81
	ds_write_b32 v3, v8 offset:432
	v_mul_u32_u24_e32 v8, 0x21c, v72
	v_add_f32_e32 v24, v24, v34
	v_add3_u32 v5, 0, v8, v5
	ds_write2_b32 v5, v24, v37 offset1:27
	ds_write2_b32 v5, v6, v62 offset0:54 offset1:81
	ds_write_b32 v5, v18 offset:432
	v_add_u32_e32 v6, 0x200, v12
	v_add_u32_e32 v8, 0x600, v12
	s_waitcnt lgkmcnt(0)
	; wave barrier
	s_waitcnt lgkmcnt(0)
	ds_read2_b32 v[52:53], v12 offset1:135
	ds_read2_b32 v[30:31], v6 offset0:70 offset1:142
	ds_read2_b32 v[40:41], v15 offset0:77 offset1:149
	;; [unrolled: 1-line block ×3, first 2 shown]
	v_add_u32_e32 v11, 0xa00, v12
	ds_read_b32 v28, v28
	ds_read_b32 v77, v12 offset:3492
	ds_read2_b32 v[36:37], v14 offset0:91 offset1:163
	ds_read2_b32 v[42:43], v11 offset0:98 offset1:170
	v_sub_u32_e32 v62, 0, v20
	v_sub_u32_e32 v20, 0, v25
	v_cmp_gt_u32_e64 s[0:1], 9, v63
	v_add_u32_e32 v61, v23, v20
                                        ; implicit-def: $vgpr24
                                        ; implicit-def: $vgpr21
                                        ; implicit-def: $vgpr22
	s_and_saveexec_b64 s[2:3], s[0:1]
	s_cbranch_execz .LBB0_15
; %bb.14:
	ds_read_b32 v18, v61
	ds_read2_b32 v[20:21], v15 offset0:5 offset1:140
	ds_read2_b32 v[24:25], v14 offset0:19 offset1:154
	ds_read2_b32 v[22:23], v27 offset0:33 offset1:168
.LBB0_15:
	s_or_b64 exec, exec, s[2:3]
	v_add_f32_e32 v64, v46, v48
	v_fma_f32 v64, -0.5, v64, v0
	v_sub_f32_e32 v55, v55, v59
	v_fmamk_f32 v59, v55, 0xbf737871, v64
	v_sub_f32_e32 v56, v56, v57
	v_sub_f32_e32 v57, v45, v46
	v_sub_f32_e32 v65, v50, v48
	v_fmac_f32_e32 v64, 0x3f737871, v55
	v_add_f32_e32 v27, v0, v45
	v_fmac_f32_e32 v59, 0xbf167918, v56
	v_add_f32_e32 v57, v57, v65
	;; [unrolled: 2-line block ×3, first 2 shown]
	v_fmac_f32_e32 v59, 0x3e9e377a, v57
	v_fmac_f32_e32 v64, 0x3e9e377a, v57
	v_add_f32_e32 v57, v45, v50
	v_sub_f32_e32 v45, v46, v45
	v_sub_f32_e32 v46, v48, v50
	v_add_f32_e32 v45, v45, v46
	v_add_f32_e32 v46, v19, v35
	;; [unrolled: 1-line block ×3, first 2 shown]
	v_fma_f32 v46, -0.5, v46, v1
	v_sub_f32_e32 v48, v49, v54
	v_add_f32_e32 v27, v27, v50
	v_fmac_f32_e32 v0, -0.5, v57
	v_fmamk_f32 v49, v48, 0xbf737871, v46
	v_sub_f32_e32 v47, v47, v51
	v_sub_f32_e32 v50, v33, v19
	;; [unrolled: 1-line block ×3, first 2 shown]
	v_fmac_f32_e32 v46, 0x3f737871, v48
	v_fmamk_f32 v57, v56, 0x3f737871, v0
	v_fmac_f32_e32 v0, 0xbf737871, v56
	v_fmac_f32_e32 v49, 0xbf167918, v47
	v_add_f32_e32 v50, v50, v51
	v_fmac_f32_e32 v46, 0x3f167918, v47
	v_fmac_f32_e32 v57, 0xbf167918, v55
	;; [unrolled: 1-line block ×5, first 2 shown]
	v_add_f32_e32 v50, v33, v44
	v_fmac_f32_e32 v57, 0x3e9e377a, v45
	v_fmac_f32_e32 v0, 0x3e9e377a, v45
	v_add_f32_e32 v45, v1, v33
	v_fmac_f32_e32 v1, -0.5, v50
	v_add_f32_e32 v45, v45, v19
	v_fmamk_f32 v50, v47, 0x3f737871, v1
	v_sub_f32_e32 v19, v19, v33
	v_sub_f32_e32 v33, v35, v44
	v_fmac_f32_e32 v1, 0xbf737871, v47
	v_fmac_f32_e32 v50, 0xbf167918, v48
	v_add_f32_e32 v19, v19, v33
	v_fmac_f32_e32 v1, 0x3f167918, v48
	v_fmac_f32_e32 v50, 0x3e9e377a, v19
	;; [unrolled: 1-line block ×3, first 2 shown]
	v_add_f32_e32 v19, v13, v26
	v_add_f32_e32 v19, v19, v9
	v_add_f32_e32 v19, v19, v7
	v_add_f32_e32 v33, v19, v29
	v_add_f32_e32 v19, v9, v7
	v_fma_f32 v19, -0.5, v19, v13
	v_sub_f32_e32 v2, v2, v34
	v_add_f32_e32 v45, v45, v35
	v_fmamk_f32 v34, v2, 0xbf737871, v19
	v_sub_f32_e32 v4, v4, v32
	v_sub_f32_e32 v32, v26, v9
	;; [unrolled: 1-line block ×3, first 2 shown]
	v_fmac_f32_e32 v19, 0x3f737871, v2
	v_fmac_f32_e32 v34, 0xbf167918, v4
	v_add_f32_e32 v32, v32, v35
	v_fmac_f32_e32 v19, 0x3f167918, v4
	v_fmac_f32_e32 v34, 0x3e9e377a, v32
	;; [unrolled: 1-line block ×3, first 2 shown]
	v_add_f32_e32 v32, v26, v29
	v_fmac_f32_e32 v13, -0.5, v32
	v_fmamk_f32 v32, v4, 0x3f737871, v13
	v_sub_f32_e32 v9, v9, v26
	v_sub_f32_e32 v7, v7, v29
	v_fmac_f32_e32 v13, 0xbf737871, v4
	v_add_f32_e32 v45, v45, v44
	v_fmac_f32_e32 v32, 0xbf167918, v2
	v_add_f32_e32 v7, v9, v7
	v_fmac_f32_e32 v13, 0x3f167918, v2
	v_fmac_f32_e32 v32, 0x3e9e377a, v7
	;; [unrolled: 1-line block ×3, first 2 shown]
	s_waitcnt lgkmcnt(0)
	; wave barrier
	s_waitcnt lgkmcnt(0)
	ds_write2_b32 v60, v27, v59 offset1:27
	ds_write2_b32 v60, v57, v0 offset0:54 offset1:81
	ds_write_b32 v60, v64 offset:432
	ds_write2_b32 v3, v45, v49 offset1:27
	ds_write2_b32 v3, v50, v1 offset0:54 offset1:81
	ds_write_b32 v3, v46 offset:432
	;; [unrolled: 3-line block ×3, first 2 shown]
	s_waitcnt lgkmcnt(0)
	; wave barrier
	s_waitcnt lgkmcnt(0)
	ds_read2_b32 v[56:57], v12 offset1:135
	ds_read2_b32 v[44:45], v6 offset0:70 offset1:142
	ds_read2_b32 v[50:51], v15 offset0:77 offset1:149
	;; [unrolled: 1-line block ×5, first 2 shown]
	v_add_u32_e32 v0, v10, v62
	ds_read_b32 v29, v0
	ds_read_b32 v78, v12 offset:3492
                                        ; implicit-def: $vgpr27
                                        ; implicit-def: $vgpr34
                                        ; implicit-def: $vgpr32
	s_and_saveexec_b64 s[2:3], s[0:1]
	s_cbranch_execz .LBB0_17
; %bb.16:
	v_add_u32_e32 v0, 0x400, v12
	ds_read2_b32 v[26:27], v0 offset0:5 offset1:140
	v_add_u32_e32 v0, 0x800, v12
	ds_read2_b32 v[32:33], v0 offset0:19 offset1:154
	v_add_u32_e32 v0, 0xc00, v12
	ds_read_b32 v19, v61
	ds_read2_b32 v[34:35], v0 offset0:33 offset1:168
.LBB0_17:
	s_or_b64 exec, exec, s[2:3]
	s_and_saveexec_b64 s[2:3], vcc
	s_cbranch_execz .LBB0_20
; %bb.18:
	v_mul_u32_u24_e32 v0, 6, v63
	v_lshlrev_b32_e32 v12, 3, v0
	global_load_dwordx4 v[4:7], v12, s[4:5] offset:1088
	global_load_dwordx4 v[0:3], v12, s[4:5] offset:1056
	;; [unrolled: 1-line block ×3, first 2 shown]
	s_waitcnt lgkmcnt(5)
	v_mov_b32_e32 v64, v51
	s_waitcnt lgkmcnt(2)
	v_mov_b32_e32 v65, v55
	v_mov_b32_e32 v62, v41
	;; [unrolled: 1-line block ×15, first 2 shown]
	v_mul_i32_i24_e32 v58, 6, v58
	v_mov_b32_e32 v59, 0
	v_lshl_add_u64 v[80:81], v[58:59], 3, s[4:5]
	global_load_dwordx4 v[12:15], v[80:81], off offset:1088
	s_mov_b32 s20, 0x3f955555
	s_mov_b32 s12, 0x3eae86e6
	;; [unrolled: 1-line block ×7, first 2 shown]
	v_mov_b32_e32 v51, v46
	v_mov_b32_e32 v41, v36
	;; [unrolled: 1-line block ×3, first 2 shown]
	s_waitcnt vmcnt(3)
	v_mov_b32_e32 v87, v6
	v_mul_f32_e32 v82, v37, v5
	s_waitcnt vmcnt(1)
	v_mov_b32_e32 v86, v9
	v_mov_b32_e32 v88, v11
	;; [unrolled: 1-line block ×3, first 2 shown]
	v_pk_mul_f32 v[64:65], v[64:65], v[86:87]
	v_mov_b32_e32 v86, v5
	v_mov_b32_e32 v5, v9
	;; [unrolled: 1-line block ×3, first 2 shown]
	v_mul_f32_e32 v84, v31, v3
	v_pk_mul_f32 v[68:69], v[68:69], v[88:89]
	v_mov_b32_e32 v88, v3
	v_mov_b32_e32 v3, v11
	;; [unrolled: 1-line block ×3, first 2 shown]
	v_pk_fma_f32 v[90:91], v[62:63], v[8:9], v[64:65] neg_lo:[0,0,1] neg_hi:[0,0,1]
	v_pk_fma_f32 v[60:61], v[60:61], v[8:9], v[64:65]
	v_mov_b32_e32 v87, v8
	v_mad_u64_u32 v[8:9], s[2:3], s8, v63, 0
	v_pk_fma_f32 v[64:65], v[66:67], v[10:11], v[68:69] neg_lo:[0,0,1] neg_hi:[0,0,1]
	v_pk_fma_f32 v[66:67], v[66:67], v[10:11], v[68:69]
	v_mov_b32_e32 v89, v10
	v_mov_b32_e32 v10, v9
	v_mad_u64_u32 v[10:11], s[2:3], s9, v63, v[10:11]
	v_pk_mul_f32 v[70:71], v[70:71], v[86:87]
	v_add_u32_e32 v11, 0x87, v63
	v_pk_fma_f32 v[86:87], v[72:73], v[4:5], v[70:71] neg_lo:[0,0,1] neg_hi:[0,0,1]
	v_pk_fma_f32 v[70:71], v[74:75], v[4:5], v[70:71]
	v_mad_u64_u32 v[74:75], s[2:3], s8, v11, 0
	v_mul_f32_e32 v5, v55, v7
	v_fmac_f32_e32 v82, v47, v4
	v_fma_f32 v5, v43, v6, -v5
	v_mov_b32_e32 v4, v75
	v_mov_b32_e32 v68, v45
	;; [unrolled: 1-line block ×3, first 2 shown]
	v_mad_u64_u32 v[6:7], s[2:3], s9, v11, v[4:5]
	v_mov_b32_e32 v9, v10
	v_mov_b32_e32 v10, v31
	;; [unrolled: 1-line block ×3, first 2 shown]
	v_pk_mul_f32 v[6:7], v[68:69], v[88:89]
	v_mul_f32_e32 v1, v57, v1
	v_fmac_f32_e32 v84, v45, v2
	v_pk_fma_f32 v[10:11], v[10:11], v[2:3], v[6:7] neg_lo:[0,0,1] neg_hi:[0,0,1]
	v_pk_fma_f32 v[2:3], v[92:93], v[2:3], v[6:7]
	v_fma_f32 v1, v53, v0, -v1
	v_mov_b32_e32 v87, v71
	v_mov_b32_e32 v11, v3
	;; [unrolled: 1-line block ×4, first 2 shown]
	v_add_f32_e32 v6, v1, v5
	v_add_f32_e32 v57, v84, v82
	v_mov_b32_e32 v85, v64
	v_mov_b32_e32 v60, v61
	;; [unrolled: 1-line block ×3, first 2 shown]
	v_pk_add_f32 v[68:69], v[10:11], v[86:87] neg_lo:[0,1] neg_hi:[0,1]
	v_pk_add_f32 v[10:11], v[10:11], v[86:87]
	v_pk_add_f32 v[64:65], v[64:65], v[90:91]
	v_mov_b32_e32 v83, v90
	v_mov_b32_e32 v0, v67
	v_pk_add_f32 v[82:83], v[84:85], v[82:83] neg_lo:[0,1] neg_hi:[0,1]
	v_add_f32_e32 v84, v6, v10
	v_mov_b32_e32 v85, v11
	v_add_f32_e32 v87, v65, v57
	v_mov_b32_e32 v86, v64
	v_pk_add_f32 v[60:61], v[0:1], v[60:61] neg_lo:[0,1] neg_hi:[0,1]
	v_mov_b32_e32 v0, v3
	v_mov_b32_e32 v4, v71
	;; [unrolled: 1-line block ×3, first 2 shown]
	v_pk_add_f32 v[84:85], v[84:85], v[86:87]
	v_mov_b32_e32 v31, v68
	v_pk_add_f32 v[0:1], v[0:1], v[4:5] neg_lo:[0,1] neg_hi:[0,1]
	v_lshl_add_u64 v[8:9], v[8:9], 3, v[16:17]
	v_mov_b32_e32 v7, v11
	v_mov_b32_e32 v56, v64
	v_pk_add_f32 v[66:67], v[82:83], v[30:31]
	s_mov_b32 s2, 0x3f4a47b2
	v_mov_b32_e32 v4, v60
	v_mov_b32_e32 v5, v83
	;; [unrolled: 1-line block ×4, first 2 shown]
	v_pk_add_f32 v[52:53], v[52:53], v[84:85]
	v_mov_b32_e32 v61, v67
	v_pk_add_f32 v[66:67], v[6:7], v[56:57] neg_lo:[0,1] neg_hi:[0,1]
	s_mov_b32 s3, 0x3d64c772
	v_pk_add_f32 v[4:5], v[4:5], v[70:71] neg_lo:[0,1] neg_hi:[0,1]
	v_pk_fma_f32 v[84:85], v[84:85], s[20:21], v[52:53] op_sel_hi:[1,0,1] neg_lo:[1,0,0] neg_hi:[1,0,0]
	global_store_dwordx2 v[8:9], v[52:53], off
	v_pk_add_f32 v[52:53], v[0:1], v[82:83]
	v_pk_mul_f32 v[66:67], v[66:67], s[2:3]
	v_pk_add_f32 v[2:3], v[64:65], v[10:11] neg_lo:[0,1] neg_hi:[0,1]
	s_mov_b32 s10, s3
	s_mov_b32 s11, s2
	v_pk_mul_f32 v[4:5], v[4:5], s[12:13]
	v_pk_add_f32 v[8:9], v[0:1], v[82:83] neg_lo:[0,1] neg_hi:[0,1]
	v_mov_b32_e32 v53, v1
	v_pk_fma_f32 v[70:71], v[2:3], s[10:11], v[66:67]
	v_pk_add_f32 v[52:53], v[52:53], v[60:61]
	v_pk_fma_f32 v[86:87], v[8:9], s[14:15], v[4:5]
	v_pk_add_f32 v[70:71], v[70:71], v[84:85]
	v_pk_fma_f32 v[86:87], v[52:53], s[6:7], v[86:87] op_sel_hi:[1,0,1]
	v_lshl_add_u64 v[74:75], v[74:75], 3, v[16:17]
	v_pk_add_f32 v[88:89], v[70:71], v[86:87] neg_lo:[0,1] neg_hi:[0,1]
	v_pk_add_f32 v[70:71], v[70:71], v[86:87]
	v_mov_b32_e32 v87, v89
	v_mov_b32_e32 v86, v70
	v_add_u32_e32 v7, 0x10e, v63
	global_store_dwordx2 v[74:75], v[86:87], off
	v_mad_u64_u32 v[74:75], s[16:17], s8, v7, 0
	v_mov_b32_e32 v0, v75
	v_mad_u64_u32 v[86:87], s[16:17], s9, v7, v[0:1]
	v_add_u32_e32 v7, 0x195, v63
	v_mov_b32_e32 v75, v86
	v_mad_u64_u32 v[86:87], s[16:17], s8, v7, 0
	v_mov_b32_e32 v0, v87
	v_mad_u64_u32 v[90:91], s[16:17], s9, v7, v[0:1]
	v_add_u32_e32 v7, 0x21c, v63
	v_mov_b32_e32 v87, v90
	v_mad_u64_u32 v[90:91], s[16:17], s8, v7, 0
	v_mov_b32_e32 v0, v91
	v_mad_u64_u32 v[92:93], s[16:17], s9, v7, v[0:1]
	v_mov_b32_e32 v11, v57
	v_mov_b32_e32 v7, v65
	v_pk_mul_f32 v[56:57], v[2:3], s[10:11]
	v_pk_mul_f32 v[2:3], v[8:9], s[14:15]
	v_mov_b32_e32 v83, v68
	v_mov_b32_e32 v61, v1
	v_pk_add_f32 v[6:7], v[10:11], v[6:7] neg_lo:[0,1] neg_hi:[0,1]
	v_mov_b32_e32 v8, v66
	v_mov_b32_e32 v9, v57
	s_mov_b32 s16, 0x3f3bfb3b
	v_pk_add_f32 v[0:1], v[82:83], v[60:61] neg_lo:[0,1] neg_hi:[0,1]
	v_mov_b32_e32 v60, v4
	v_mov_b32_e32 v61, v3
	v_pk_fma_f32 v[8:9], v[6:7], s[16:17], v[8:9] op_sel_hi:[1,0,1] neg_lo:[1,0,1] neg_hi:[1,0,1]
	v_pk_fma_f32 v[60:61], v[0:1], s[18:19], v[60:61] op_sel_hi:[1,0,1] neg_lo:[1,0,1] neg_hi:[1,0,1]
	v_mov_b32_e32 v3, v5
	v_pk_add_f32 v[8:9], v[8:9], v[84:85]
	v_pk_fma_f32 v[60:61], v[52:53], s[6:7], v[60:61] op_sel_hi:[1,0,1]
	v_pk_fma_f32 v[0:1], v[0:1], s[18:19], v[2:3] op_sel_hi:[1,0,1] neg_lo:[0,0,1] neg_hi:[0,0,1]
	v_mov_b32_e32 v57, v67
	v_pk_add_f32 v[64:65], v[8:9], v[60:61] neg_lo:[0,1] neg_hi:[0,1]
	v_pk_add_f32 v[8:9], v[8:9], v[60:61]
	v_pk_fma_f32 v[4:5], v[52:53], s[6:7], v[0:1] op_sel_hi:[1,0,1]
	global_load_dwordx4 v[0:3], v[80:81], off offset:1072
	v_pk_fma_f32 v[6:7], v[6:7], s[16:17], v[56:57] op_sel_hi:[1,0,1] neg_lo:[0,0,1] neg_hi:[0,0,1]
	v_lshl_add_u64 v[10:11], v[74:75], 3, v[16:17]
	v_mov_b32_e32 v60, v8
	v_mov_b32_e32 v61, v65
	v_pk_add_f32 v[6:7], v[6:7], v[84:85]
	global_store_dwordx2 v[10:11], v[60:61], off
	v_add_u32_e32 v8, 0x2a3, v63
	v_pk_add_f32 v[56:57], v[6:7], v[4:5]
	v_pk_add_f32 v[60:61], v[6:7], v[4:5] neg_lo:[0,1] neg_hi:[0,1]
	v_mad_u64_u32 v[10:11], s[22:23], s8, v8, 0
	v_lshl_add_u64 v[52:53], v[86:87], 3, v[16:17]
	v_mov_b32_e32 v4, v60
	v_mov_b32_e32 v5, v57
	global_store_dwordx2 v[52:53], v[4:5], off
	v_mov_b32_e32 v4, v11
	v_mad_u64_u32 v[52:53], s[22:23], s9, v8, v[4:5]
	global_load_dwordx4 v[4:7], v[80:81], off offset:1056
	v_add_u32_e32 v37, 0x32a, v63
	v_mov_b32_e32 v91, v92
	v_mov_b32_e32 v11, v52
	s_waitcnt vmcnt(6) lgkmcnt(0)
	v_mul_f32_e32 v8, v78, v15
	v_mad_u64_u32 v[52:53], s[22:23], s8, v37, 0
	v_fma_f32 v31, v77, v14, -v8
	v_mov_b32_e32 v57, v61
	v_lshl_add_u64 v[60:61], v[90:91], 3, v[16:17]
	v_mov_b32_e32 v8, v53
	global_store_dwordx2 v[60:61], v[56:57], off
	v_mad_u64_u32 v[56:57], s[22:23], s9, v37, v[8:9]
	v_mov_b32_e32 v53, v56
	v_lshl_add_u64 v[10:11], v[10:11], 3, v[16:17]
	v_mov_b32_e32 v65, v9
	v_lshl_add_u64 v[52:53], v[52:53], 3, v[16:17]
	global_store_dwordx2 v[10:11], v[64:65], off
	v_mov_b32_e32 v89, v71
	v_mad_u64_u32 v[10:11], s[22:23], s8, v76, 0
	global_store_dwordx2 v[52:53], v[88:89], off
	v_mov_b32_e32 v52, v11
	v_mad_u64_u32 v[52:53], s[22:23], s9, v76, v[52:53]
	v_add_u32_e32 v9, 0xc6, v63
	v_mov_b32_e32 v11, v52
	v_mad_u64_u32 v[52:53], s[22:23], s8, v9, 0
	v_mov_b32_e32 v56, v53
	v_mad_u64_u32 v[56:57], s[22:23], s9, v9, v[56:57]
	v_add_u32_e32 v9, 0x14d, v63
	v_mov_b32_e32 v53, v56
	v_mad_u64_u32 v[56:57], s[22:23], s8, v9, 0
	;; [unrolled: 5-line block ×5, first 2 shown]
	v_mov_b32_e32 v58, v67
	v_mad_u64_u32 v[68:69], s[22:23], s9, v9, v[58:59]
	v_mul_f32_e32 v8, v42, v13
	v_mov_b32_e32 v67, v68
	v_mov_b32_e32 v55, v48
	;; [unrolled: 1-line block ×3, first 2 shown]
	s_waitcnt vmcnt(6)
	v_mov_b32_e32 v69, v0
	v_fmac_f32_e32 v8, v54, v12
	v_add_u32_e32 v9, 0x369, v63
	v_pk_mul_f32 v[54:55], v[54:55], v[68:69]
	v_mov_b32_e32 v43, v38
	v_mov_b32_e32 v13, v1
	v_pk_fma_f32 v[68:69], v[42:43], v[12:13], v[54:55] neg_lo:[0,0,1] neg_hi:[0,0,1]
	v_pk_fma_f32 v[12:13], v[42:43], v[12:13], v[54:55]
	v_mov_b32_e32 v42, v1
	v_mov_b32_e32 v43, v14
	v_mov_b32_e32 v1, v15
	v_mad_u64_u32 v[14:15], s[22:23], s8, v9, 0
	v_mov_b32_e32 v12, v15
	v_mad_u64_u32 v[54:55], s[22:23], s9, v9, v[12:13]
	s_waitcnt vmcnt(3)
	v_mul_f32_e32 v70, v40, v7
	v_mov_b32_e32 v15, v54
	v_mov_b32_e32 v54, v7
	v_mov_b32_e32 v55, v2
	v_fmac_f32_e32 v70, v50, v6
	v_pk_mul_f32 v[50:51], v[50:51], v[54:55]
	v_mov_b32_e32 v7, v3
	v_pk_fma_f32 v[54:55], v[40:41], v[6:7], v[50:51] neg_lo:[0,0,1] neg_hi:[0,0,1]
	v_pk_fma_f32 v[6:7], v[40:41], v[6:7], v[50:51]
	v_mov_b32_e32 v49, v78
	v_lshl_add_u64 v[50:51], v[56:57], 3, v[16:17]
	v_lshl_add_u64 v[56:57], v[64:65], 3, v[16:17]
	v_mov_b32_e32 v47, v44
	v_mov_b32_e32 v64, v3
	;; [unrolled: 1-line block ×3, first 2 shown]
	v_mul_f32_e32 v6, v44, v5
	v_pk_mul_f32 v[42:43], v[48:49], v[42:43]
	v_pk_mul_f32 v[46:47], v[46:47], v[64:65]
	v_mov_b32_e32 v37, v30
	v_mov_b32_e32 v3, v5
	v_fma_f32 v41, v30, v4, -v6
	v_pk_fma_f32 v[48:49], v[38:39], v[0:1], v[42:43] neg_lo:[0,0,1] neg_hi:[0,0,1]
	v_pk_fma_f32 v[0:1], v[38:39], v[0:1], v[42:43]
	v_mov_b32_e32 v69, v13
	v_mov_b32_e32 v55, v7
	v_pk_fma_f32 v[4:5], v[36:37], v[2:3], v[46:47] neg_lo:[0,0,1] neg_hi:[0,0,1]
	v_pk_fma_f32 v[2:3], v[36:37], v[2:3], v[46:47]
	v_pk_add_f32 v[64:65], v[54:55], v[68:69] neg_lo:[0,1] neg_hi:[0,1]
	v_mov_b32_e32 v49, v1
	v_mov_b32_e32 v5, v3
	;; [unrolled: 1-line block ×4, first 2 shown]
	v_pk_add_f32 v[36:37], v[4:5], v[48:49]
	v_mov_b32_e32 v0, v1
	v_mov_b32_e32 v1, v48
	v_pk_add_f32 v[4:5], v[70:71], v[8:9] neg_lo:[0,1] neg_hi:[0,1]
	v_mov_b32_e32 v2, v3
	v_mov_b32_e32 v3, v64
	v_pk_add_f32 v[0:1], v[2:3], v[0:1] neg_lo:[0,1] neg_hi:[0,1]
	v_pk_add_f32 v[2:3], v[4:5], v[2:3]
	v_mov_b32_e32 v40, v7
	v_mov_b32_e32 v30, v13
	v_add_f32_e32 v45, v70, v8
	v_add_f32_e32 v38, v41, v31
	v_pk_add_f32 v[54:55], v[54:55], v[68:69]
	v_mov_b32_e32 v1, v3
	v_pk_add_f32 v[2:3], v[40:41], v[30:31] neg_lo:[0,1] neg_hi:[0,1]
	v_add_f32_e32 v47, v37, v45
	v_mov_b32_e32 v39, v55
	v_mov_b32_e32 v44, v36
	v_add_f32_e32 v76, v38, v54
	v_mov_b32_e32 v77, v55
	v_mov_b32_e32 v46, v36
	;; [unrolled: 1-line block ×6, first 2 shown]
	v_lshl_add_u64 v[42:43], v[52:53], 3, v[16:17]
	v_lshl_add_u64 v[52:53], v[60:61], 3, v[16:17]
	;; [unrolled: 1-line block ×3, first 2 shown]
	v_pk_add_f32 v[66:67], v[38:39], v[44:45] neg_lo:[0,1] neg_hi:[0,1]
	v_pk_add_f32 v[46:47], v[76:77], v[46:47]
	v_pk_add_f32 v[6:7], v[6:7], v[8:9] neg_lo:[0,1] neg_hi:[0,1]
	v_pk_add_f32 v[30:31], v[2:3], v[4:5]
	v_pk_mul_f32 v[66:67], v[66:67], s[2:3]
	v_pk_add_f32 v[68:69], v[36:37], v[54:55] neg_lo:[0,1] neg_hi:[0,1]
	v_pk_add_f32 v[28:29], v[28:29], v[46:47]
	v_pk_mul_f32 v[6:7], v[6:7], s[12:13]
	v_pk_add_f32 v[8:9], v[2:3], v[4:5] neg_lo:[0,1] neg_hi:[0,1]
	v_mov_b32_e32 v31, v3
	v_pk_mul_f32 v[74:75], v[68:69], s[10:11]
	v_pk_fma_f32 v[68:69], v[68:69], s[10:11], v[66:67]
	v_pk_fma_f32 v[46:47], v[46:47], s[20:21], v[28:29] op_sel_hi:[1,0,1] neg_lo:[1,0,0] neg_hi:[1,0,0]
	v_pk_mul_f32 v[12:13], v[8:9], s[14:15]
	v_pk_fma_f32 v[8:9], v[8:9], s[14:15], v[6:7]
	v_pk_add_f32 v[30:31], v[30:31], v[0:1]
	v_pk_add_f32 v[68:69], v[68:69], v[46:47]
	v_pk_fma_f32 v[8:9], v[30:31], s[6:7], v[8:9] op_sel_hi:[1,0,1]
	v_lshl_add_u64 v[10:11], v[10:11], 3, v[16:17]
	v_pk_add_f32 v[40:41], v[68:69], v[8:9] neg_lo:[0,1] neg_hi:[0,1]
	v_pk_add_f32 v[8:9], v[68:69], v[8:9]
	global_store_dwordx2 v[10:11], v[28:29], off
	v_mov_b32_e32 v10, v8
	v_mov_b32_e32 v11, v41
	;; [unrolled: 1-line block ×6, first 2 shown]
	global_store_dwordx2 v[42:43], v[10:11], off
	v_mov_b32_e32 v10, v66
	v_mov_b32_e32 v11, v75
	v_pk_add_f32 v[28:29], v[54:55], v[38:39] neg_lo:[0,1] neg_hi:[0,1]
	v_pk_add_f32 v[0:1], v[4:5], v[0:1] neg_lo:[0,1] neg_hi:[0,1]
	v_mov_b32_e32 v2, v6
	v_mov_b32_e32 v3, v13
	v_pk_fma_f32 v[10:11], v[28:29], s[16:17], v[10:11] op_sel_hi:[1,0,1] neg_lo:[1,0,1] neg_hi:[1,0,1]
	v_pk_fma_f32 v[2:3], v[0:1], s[18:19], v[2:3] op_sel_hi:[1,0,1] neg_lo:[1,0,1] neg_hi:[1,0,1]
	v_pk_add_f32 v[10:11], v[10:11], v[46:47]
	v_pk_fma_f32 v[2:3], v[30:31], s[6:7], v[2:3] op_sel_hi:[1,0,1]
	v_mov_b32_e32 v13, v7
	v_mov_b32_e32 v75, v67
	v_pk_add_f32 v[4:5], v[10:11], v[2:3] neg_lo:[0,1] neg_hi:[0,1]
	v_pk_add_f32 v[2:3], v[10:11], v[2:3]
	v_pk_fma_f32 v[0:1], v[0:1], s[18:19], v[12:13] op_sel_hi:[1,0,1] neg_lo:[0,0,1] neg_hi:[0,0,1]
	v_pk_fma_f32 v[6:7], v[28:29], s[16:17], v[74:75] op_sel_hi:[1,0,1] neg_lo:[0,0,1] neg_hi:[0,0,1]
	v_mov_b32_e32 v10, v2
	v_mov_b32_e32 v11, v5
	v_pk_fma_f32 v[0:1], v[30:31], s[6:7], v[0:1] op_sel_hi:[1,0,1]
	v_pk_add_f32 v[6:7], v[6:7], v[46:47]
	global_store_dwordx2 v[50:51], v[10:11], off
	v_pk_add_f32 v[10:11], v[6:7], v[0:1]
	v_pk_add_f32 v[0:1], v[6:7], v[0:1] neg_lo:[0,1] neg_hi:[0,1]
	v_lshl_add_u64 v[14:15], v[14:15], 3, v[16:17]
	v_mov_b32_e32 v6, v0
	v_mov_b32_e32 v7, v11
	;; [unrolled: 1-line block ×5, first 2 shown]
	global_store_dwordx2 v[52:53], v[6:7], off
	global_store_dwordx2 v[56:57], v[10:11], off
	;; [unrolled: 1-line block ×4, first 2 shown]
	s_and_b64 exec, exec, s[0:1]
	s_cbranch_execz .LBB0_20
; %bb.19:
	v_add_u32_e32 v0, -9, v63
	v_cndmask_b32_e64 v0, v0, v73, s[0:1]
	v_mul_i32_i24_e32 v58, 6, v0
	v_lshl_add_u64 v[12:13], v[58:59], 3, s[4:5]
	global_load_dwordx4 v[0:3], v[12:13], off offset:1056
	global_load_dwordx4 v[4:7], v[12:13], off offset:1072
	;; [unrolled: 1-line block ×3, first 2 shown]
	v_mov_b32_e32 v13, v25
	v_mov_b32_e32 v14, v20
	;; [unrolled: 1-line block ×15, first 2 shown]
	s_mov_b32 s0, 0xbf955555
	s_waitcnt vmcnt(2)
	v_mul_f32_e32 v20, v20, v1
	v_mov_b32_e32 v42, v3
	s_waitcnt vmcnt(0)
	v_mul_f32_e32 v25, v34, v9
	v_mul_f32_e32 v34, v23, v11
	v_mov_b32_e32 v43, v4
	v_mov_b32_e32 v44, v7
	;; [unrolled: 1-line block ×7, first 2 shown]
	v_fmac_f32_e32 v20, v26, v0
	v_fmac_f32_e32 v34, v35, v10
	v_mov_b32_e32 v46, v5
	v_mov_b32_e32 v48, v5
	;; [unrolled: 1-line block ×6, first 2 shown]
	v_pk_mul_f32 v[10:11], v[36:37], v[42:43]
	v_mov_b32_e32 v26, v32
	v_pk_mul_f32 v[30:31], v[30:31], v[50:51]
	v_fma_f32 v23, v22, v8, -v25
	v_pk_mul_f32 v[36:37], v[38:39], v[44:45]
	v_mov_b32_e32 v8, v6
	v_pk_mul_f32 v[28:29], v[28:29], v[52:53]
	v_add_f32_e32 v25, v20, v34
	v_mul_f32_e32 v3, v27, v3
	v_pk_fma_f32 v[32:33], v[32:33], v[46:47], v[10:11] op_sel:[0,0,1] op_sel_hi:[0,1,0] neg_lo:[1,0,0] neg_hi:[1,0,0]
	v_pk_fma_f32 v[10:11], v[26:27], v[48:49], v[10:11] op_sel:[0,0,1] op_sel_hi:[1,1,0]
	v_pk_fma_f32 v[26:27], v[14:15], v[0:1], v[30:31] neg_lo:[0,0,1] neg_hi:[0,0,1]
	v_pk_fma_f32 v[0:1], v[14:15], v[0:1], v[30:31]
	v_pk_fma_f32 v[6:7], v[24:25], v[6:7], v[36:37] op_sel_hi:[0,1,1] neg_lo:[0,0,1] neg_hi:[0,0,1]
	v_pk_fma_f32 v[8:9], v[40:41], v[8:9], v[36:37]
	v_pk_fma_f32 v[14:15], v[12:13], v[4:5], v[28:29] neg_lo:[0,0,1] neg_hi:[0,0,1]
	v_pk_fma_f32 v[4:5], v[12:13], v[4:5], v[28:29]
	v_fma_f32 v3, v21, v2, -v3
	v_mov_b32_e32 v33, v11
	v_mov_b32_e32 v27, v1
	;; [unrolled: 1-line block ×12, first 2 shown]
	v_add_f32_e32 v0, v3, v23
	v_pk_add_f32 v[10:11], v[20:21], v[34:35] neg_lo:[0,1] neg_hi:[0,1]
	v_pk_add_f32 v[2:3], v[2:3], v[22:23] neg_lo:[0,1] neg_hi:[0,1]
	v_pk_add_f32 v[6:7], v[32:33], v[6:7]
	v_pk_add_f32 v[12:13], v[26:27], v[14:15]
	v_pk_add_f32 v[4:5], v[4:5], v[8:9] neg_lo:[0,1] neg_hi:[0,1]
	v_mov_b32_e32 v24, v6
	v_mov_b32_e32 v1, v13
	v_pk_add_f32 v[22:23], v[4:5], v[2:3]
	v_mov_b32_e32 v26, v4
	v_mov_b32_e32 v27, v11
	;; [unrolled: 1-line block ×7, first 2 shown]
	v_add_f32_e32 v8, v0, v12
	v_add_f32_e32 v15, v7, v25
	v_pk_add_f32 v[20:21], v[12:13], v[6:7] neg_lo:[0,1] neg_hi:[0,1]
	v_pk_add_f32 v[32:33], v[24:25], v[0:1] neg_lo:[0,1] neg_hi:[0,1]
	;; [unrolled: 1-line block ×4, first 2 shown]
	v_mov_b32_e32 v9, v13
	v_mov_b32_e32 v14, v6
	v_pk_add_f32 v[8:9], v[8:9], v[14:15]
	v_pk_add_f32 v[14:15], v[22:23], v[10:11]
	v_pk_mul_f32 v[22:23], v[32:33], s[10:11]
	v_pk_mul_f32 v[28:29], v[20:21], s[2:3]
	;; [unrolled: 1-line block ×4, first 2 shown]
	v_mov_b32_e32 v1, v7
	v_mov_b32_e32 v13, v25
	v_pk_add_f32 v[18:19], v[18:19], v[8:9]
	v_pk_fma_f32 v[20:21], v[20:21], s[2:3], v[22:23]
	v_pk_fma_f32 v[4:5], v[4:5], s[12:13], v[26:27]
	v_pk_add_f32 v[0:1], v[0:1], v[12:13] neg_lo:[0,1] neg_hi:[0,1]
	v_pk_add_f32 v[2:3], v[2:3], v[10:11] neg_lo:[0,1] neg_hi:[0,1]
	v_mov_b32_e32 v6, v28
	v_mov_b32_e32 v7, v23
	;; [unrolled: 1-line block ×6, first 2 shown]
	v_pk_fma_f32 v[8:9], v[8:9], s[0:1], v[18:19] op_sel_hi:[1,0,1]
	v_pk_fma_f32 v[6:7], v[0:1], s[16:17], v[6:7] op_sel_hi:[1,0,1] neg_lo:[1,0,1] neg_hi:[1,0,1]
	v_pk_fma_f32 v[10:11], v[2:3], s[18:19], v[10:11] op_sel_hi:[1,0,1] neg_lo:[1,0,1] neg_hi:[1,0,1]
	;; [unrolled: 1-line block ×4, first 2 shown]
	v_pk_add_f32 v[20:21], v[20:21], v[8:9]
	v_pk_fma_f32 v[4:5], v[14:15], s[6:7], v[4:5] op_sel_hi:[1,0,1]
	v_pk_add_f32 v[6:7], v[6:7], v[8:9]
	v_pk_add_f32 v[0:1], v[0:1], v[8:9]
	v_pk_fma_f32 v[2:3], v[14:15], s[6:7], v[2:3] op_sel_hi:[1,0,1]
	v_pk_fma_f32 v[8:9], v[14:15], s[6:7], v[10:11] op_sel_hi:[1,0,1]
	v_add_u32_e32 v15, 0x7e, v63
	v_pk_add_f32 v[12:13], v[6:7], v[8:9]
	v_pk_add_f32 v[6:7], v[6:7], v[8:9] neg_lo:[0,1] neg_hi:[0,1]
	v_pk_add_f32 v[8:9], v[0:1], v[2:3] neg_lo:[0,1] neg_hi:[0,1]
	v_pk_add_f32 v[0:1], v[0:1], v[2:3]
	v_mad_u64_u32 v[2:3], s[0:1], s8, v15, 0
	v_mov_b32_e32 v14, v3
	v_mad_u64_u32 v[14:15], s[0:1], s9, v15, v[14:15]
	v_mov_b32_e32 v3, v14
	v_lshl_add_u64 v[2:3], v[2:3], 3, v[16:17]
	v_add_u32_e32 v15, 0x105, v63
	global_store_dwordx2 v[2:3], v[18:19], off
	v_mad_u64_u32 v[2:3], s[0:1], s8, v15, 0
	v_mov_b32_e32 v14, v3
	v_mad_u64_u32 v[14:15], s[0:1], s9, v15, v[14:15]
	v_pk_add_f32 v[10:11], v[20:21], v[4:5]
	v_pk_add_f32 v[4:5], v[20:21], v[4:5] neg_lo:[0,1] neg_hi:[0,1]
	v_mov_b32_e32 v3, v14
	v_lshl_add_u64 v[2:3], v[2:3], 3, v[16:17]
	v_mov_b32_e32 v14, v10
	v_mov_b32_e32 v15, v5
	v_add_u32_e32 v5, 0x18c, v63
	global_store_dwordx2 v[2:3], v[14:15], off
	v_mad_u64_u32 v[2:3], s[0:1], s8, v5, 0
	v_mov_b32_e32 v10, v3
	v_mad_u64_u32 v[14:15], s[0:1], s9, v5, v[10:11]
	v_mov_b32_e32 v3, v14
	v_lshl_add_u64 v[2:3], v[2:3], 3, v[16:17]
	v_mov_b32_e32 v14, v12
	v_mov_b32_e32 v15, v7
	v_add_u32_e32 v5, 0x213, v63
	global_store_dwordx2 v[2:3], v[14:15], off
	v_mad_u64_u32 v[2:3], s[0:1], s8, v5, 0
	v_mov_b32_e32 v10, v3
	v_mad_u64_u32 v[14:15], s[0:1], s9, v5, v[10:11]
	;; [unrolled: 9-line block ×3, first 2 shown]
	v_mov_b32_e32 v3, v14
	v_lshl_add_u64 v[2:3], v[2:3], 3, v[16:17]
	v_mov_b32_e32 v1, v9
	global_store_dwordx2 v[2:3], v[0:1], off
	v_add_u32_e32 v3, 0x321, v63
	v_mad_u64_u32 v[0:1], s[0:1], s8, v3, 0
	v_mov_b32_e32 v2, v1
	v_mad_u64_u32 v[2:3], s[0:1], s9, v3, v[2:3]
	v_mov_b32_e32 v1, v2
	v_lshl_add_u64 v[0:1], v[0:1], 3, v[16:17]
	v_mov_b32_e32 v7, v13
	v_add_u32_e32 v3, 0x3a8, v63
	global_store_dwordx2 v[0:1], v[6:7], off
	v_mad_u64_u32 v[0:1], s[0:1], s8, v3, 0
	v_mov_b32_e32 v2, v1
	v_mad_u64_u32 v[2:3], s[0:1], s9, v3, v[2:3]
	v_mov_b32_e32 v1, v2
	v_lshl_add_u64 v[0:1], v[0:1], 3, v[16:17]
	v_mov_b32_e32 v5, v11
	global_store_dwordx2 v[0:1], v[4:5], off
.LBB0_20:
	s_endpgm
	.section	.rodata,"a",@progbits
	.p2align	6, 0x0
	.amdhsa_kernel fft_rtc_fwd_len945_factors_3_3_3_5_7_wgs_63_tpt_63_halfLds_sp_ip_CI_sbrr_dirReg
		.amdhsa_group_segment_fixed_size 0
		.amdhsa_private_segment_fixed_size 0
		.amdhsa_kernarg_size 88
		.amdhsa_user_sgpr_count 2
		.amdhsa_user_sgpr_dispatch_ptr 0
		.amdhsa_user_sgpr_queue_ptr 0
		.amdhsa_user_sgpr_kernarg_segment_ptr 1
		.amdhsa_user_sgpr_dispatch_id 0
		.amdhsa_user_sgpr_kernarg_preload_length 0
		.amdhsa_user_sgpr_kernarg_preload_offset 0
		.amdhsa_user_sgpr_private_segment_size 0
		.amdhsa_uses_dynamic_stack 0
		.amdhsa_enable_private_segment 0
		.amdhsa_system_sgpr_workgroup_id_x 1
		.amdhsa_system_sgpr_workgroup_id_y 0
		.amdhsa_system_sgpr_workgroup_id_z 0
		.amdhsa_system_sgpr_workgroup_info 0
		.amdhsa_system_vgpr_workitem_id 0
		.amdhsa_next_free_vgpr 94
		.amdhsa_next_free_sgpr 24
		.amdhsa_accum_offset 96
		.amdhsa_reserve_vcc 1
		.amdhsa_float_round_mode_32 0
		.amdhsa_float_round_mode_16_64 0
		.amdhsa_float_denorm_mode_32 3
		.amdhsa_float_denorm_mode_16_64 3
		.amdhsa_dx10_clamp 1
		.amdhsa_ieee_mode 1
		.amdhsa_fp16_overflow 0
		.amdhsa_tg_split 0
		.amdhsa_exception_fp_ieee_invalid_op 0
		.amdhsa_exception_fp_denorm_src 0
		.amdhsa_exception_fp_ieee_div_zero 0
		.amdhsa_exception_fp_ieee_overflow 0
		.amdhsa_exception_fp_ieee_underflow 0
		.amdhsa_exception_fp_ieee_inexact 0
		.amdhsa_exception_int_div_zero 0
	.end_amdhsa_kernel
	.text
.Lfunc_end0:
	.size	fft_rtc_fwd_len945_factors_3_3_3_5_7_wgs_63_tpt_63_halfLds_sp_ip_CI_sbrr_dirReg, .Lfunc_end0-fft_rtc_fwd_len945_factors_3_3_3_5_7_wgs_63_tpt_63_halfLds_sp_ip_CI_sbrr_dirReg
                                        ; -- End function
	.section	.AMDGPU.csdata,"",@progbits
; Kernel info:
; codeLenInByte = 11112
; NumSgprs: 30
; NumVgprs: 94
; NumAgprs: 0
; TotalNumVgprs: 94
; ScratchSize: 0
; MemoryBound: 0
; FloatMode: 240
; IeeeMode: 1
; LDSByteSize: 0 bytes/workgroup (compile time only)
; SGPRBlocks: 3
; VGPRBlocks: 11
; NumSGPRsForWavesPerEU: 30
; NumVGPRsForWavesPerEU: 94
; AccumOffset: 96
; Occupancy: 5
; WaveLimiterHint : 1
; COMPUTE_PGM_RSRC2:SCRATCH_EN: 0
; COMPUTE_PGM_RSRC2:USER_SGPR: 2
; COMPUTE_PGM_RSRC2:TRAP_HANDLER: 0
; COMPUTE_PGM_RSRC2:TGID_X_EN: 1
; COMPUTE_PGM_RSRC2:TGID_Y_EN: 0
; COMPUTE_PGM_RSRC2:TGID_Z_EN: 0
; COMPUTE_PGM_RSRC2:TIDIG_COMP_CNT: 0
; COMPUTE_PGM_RSRC3_GFX90A:ACCUM_OFFSET: 23
; COMPUTE_PGM_RSRC3_GFX90A:TG_SPLIT: 0
	.text
	.p2alignl 6, 3212836864
	.fill 256, 4, 3212836864
	.type	__hip_cuid_98c6883476083a90,@object ; @__hip_cuid_98c6883476083a90
	.section	.bss,"aw",@nobits
	.globl	__hip_cuid_98c6883476083a90
__hip_cuid_98c6883476083a90:
	.byte	0                               ; 0x0
	.size	__hip_cuid_98c6883476083a90, 1

	.ident	"AMD clang version 19.0.0git (https://github.com/RadeonOpenCompute/llvm-project roc-6.4.0 25133 c7fe45cf4b819c5991fe208aaa96edf142730f1d)"
	.section	".note.GNU-stack","",@progbits
	.addrsig
	.addrsig_sym __hip_cuid_98c6883476083a90
	.amdgpu_metadata
---
amdhsa.kernels:
  - .agpr_count:     0
    .args:
      - .actual_access:  read_only
        .address_space:  global
        .offset:         0
        .size:           8
        .value_kind:     global_buffer
      - .offset:         8
        .size:           8
        .value_kind:     by_value
      - .actual_access:  read_only
        .address_space:  global
        .offset:         16
        .size:           8
        .value_kind:     global_buffer
      - .actual_access:  read_only
        .address_space:  global
        .offset:         24
        .size:           8
        .value_kind:     global_buffer
      - .offset:         32
        .size:           8
        .value_kind:     by_value
      - .actual_access:  read_only
        .address_space:  global
        .offset:         40
        .size:           8
        .value_kind:     global_buffer
      - .actual_access:  read_only
        .address_space:  global
        .offset:         48
        .size:           8
        .value_kind:     global_buffer
      - .offset:         56
        .size:           4
        .value_kind:     by_value
      - .actual_access:  read_only
        .address_space:  global
        .offset:         64
        .size:           8
        .value_kind:     global_buffer
      - .actual_access:  read_only
        .address_space:  global
        .offset:         72
        .size:           8
        .value_kind:     global_buffer
      - .address_space:  global
        .offset:         80
        .size:           8
        .value_kind:     global_buffer
    .group_segment_fixed_size: 0
    .kernarg_segment_align: 8
    .kernarg_segment_size: 88
    .language:       OpenCL C
    .language_version:
      - 2
      - 0
    .max_flat_workgroup_size: 63
    .name:           fft_rtc_fwd_len945_factors_3_3_3_5_7_wgs_63_tpt_63_halfLds_sp_ip_CI_sbrr_dirReg
    .private_segment_fixed_size: 0
    .sgpr_count:     30
    .sgpr_spill_count: 0
    .symbol:         fft_rtc_fwd_len945_factors_3_3_3_5_7_wgs_63_tpt_63_halfLds_sp_ip_CI_sbrr_dirReg.kd
    .uniform_work_group_size: 1
    .uses_dynamic_stack: false
    .vgpr_count:     94
    .vgpr_spill_count: 0
    .wavefront_size: 64
amdhsa.target:   amdgcn-amd-amdhsa--gfx950
amdhsa.version:
  - 1
  - 2
...

	.end_amdgpu_metadata
